;; amdgpu-corpus repo=ROCm/rocFFT kind=compiled arch=gfx950 opt=O3
	.text
	.amdgcn_target "amdgcn-amd-amdhsa--gfx950"
	.amdhsa_code_object_version 6
	.protected	bluestein_single_back_len169_dim1_dp_op_CI_CI ; -- Begin function bluestein_single_back_len169_dim1_dp_op_CI_CI
	.globl	bluestein_single_back_len169_dim1_dp_op_CI_CI
	.p2align	8
	.type	bluestein_single_back_len169_dim1_dp_op_CI_CI,@function
bluestein_single_back_len169_dim1_dp_op_CI_CI: ; @bluestein_single_back_len169_dim1_dp_op_CI_CI
; %bb.0:
	s_load_dwordx4 s[16:19], s[0:1], 0x28
	v_mul_u32_u24_e32 v1, 0x13b2, v0
	v_lshrrev_b32_e32 v2, 16, v1
	v_mad_u64_u32 v[136:137], s[2:3], s2, 19, v[2:3]
	v_mov_b32_e32 v137, 0
	s_waitcnt lgkmcnt(0)
	v_cmp_gt_u64_e32 vcc, s[16:17], v[136:137]
	s_and_saveexec_b64 s[2:3], vcc
	s_cbranch_execz .LBB0_2
; %bb.1:
	s_load_dwordx4 s[4:7], s[0:1], 0x18
	s_load_dwordx4 s[8:11], s[0:1], 0x0
	v_mul_lo_u16_e32 v1, 13, v2
	v_sub_u16_e32 v210, v0, v1
	v_mov_b32_e32 v4, s18
	s_waitcnt lgkmcnt(0)
	s_load_dwordx4 s[12:15], s[4:5], 0x0
	v_mov_b32_e32 v5, s19
	v_mov_b32_e32 v137, 0xd0
	v_lshlrev_b32_e32 v212, 4, v210
	global_load_dwordx4 v[8:11], v212, s[8:9]
	s_waitcnt lgkmcnt(0)
	v_mad_u64_u32 v[0:1], s[2:3], s14, v136, 0
	v_mov_b32_e32 v2, v1
	v_mad_u64_u32 v[2:3], s[2:3], s15, v136, v[2:3]
	v_mov_b32_e32 v1, v2
	v_mad_u64_u32 v[2:3], s[2:3], s12, v210, 0
	v_mov_b32_e32 v6, v3
	v_mad_u64_u32 v[6:7], s[2:3], s13, v210, v[6:7]
	v_mov_b32_e32 v3, v6
	v_lshl_add_u64 v[0:1], v[0:1], 4, v[4:5]
	v_lshl_add_u64 v[0:1], v[2:3], 4, v[0:1]
	global_load_dwordx4 v[52:55], v[0:1], off
	v_mad_u64_u32 v[0:1], s[2:3], s12, v137, v[0:1]
	s_mul_i32 s2, s13, 0xd0
	s_nop 0
	v_add_u32_e32 v1, s2, v1
	global_load_dwordx4 v[44:47], v212, s[8:9] offset:208
	global_load_dwordx4 v[56:59], v[0:1], off
	v_mad_u64_u32 v[0:1], s[4:5], s12, v137, v[0:1]
	v_add_u32_e32 v1, s2, v1
	global_load_dwordx4 v[60:63], v[0:1], off
	global_load_dwordx4 v[16:19], v212, s[8:9] offset:416
	v_mad_u64_u32 v[0:1], s[4:5], s12, v137, v[0:1]
	v_add_u32_e32 v1, s2, v1
	global_load_dwordx4 v[48:51], v212, s[8:9] offset:624
	global_load_dwordx4 v[64:67], v[0:1], off
	v_mad_u64_u32 v[0:1], s[4:5], s12, v137, v[0:1]
	v_add_u32_e32 v1, s2, v1
	global_load_dwordx4 v[68:71], v[0:1], off
	global_load_dwordx4 v[20:23], v212, s[8:9] offset:832
	v_mad_u64_u32 v[0:1], s[4:5], s12, v137, v[0:1]
	v_add_u32_e32 v1, s2, v1
	global_load_dwordx4 v[72:75], v[0:1], off
	global_load_dwordx4 v[40:43], v212, s[8:9] offset:1040
	;; [unrolled: 4-line block ×8, first 2 shown]
	v_mad_u64_u32 v[96:97], s[4:5], s12, v137, v[32:33]
	v_add_u32_e32 v97, s2, v97
	global_load_dwordx4 v[32:35], v212, s[8:9] offset:2496
	global_load_dwordx4 v[102:105], v[96:97], off
	s_mov_b32 s2, 0xaf286bcb
	v_mul_hi_u32 v96, v136, s2
	v_sub_u32_e32 v97, v136, v96
	v_lshrrev_b32_e32 v97, 1, v97
	v_add_u32_e32 v96, v97, v96
	v_lshrrev_b32_e32 v96, 4, v96
	v_mul_lo_u32 v96, v96, 19
	v_sub_u32_e32 v96, v136, v96
	v_mul_u32_u24_e32 v96, 0xa9, v96
	v_lshlrev_b32_e32 v96, 4, v96
	v_add_u32_e32 v211, v212, v96
	s_load_dwordx4 s[4:7], s[6:7], 0x0
	s_mov_b32 s20, 0x4267c47c
	s_mov_b32 s14, 0x42a4c3d2
	;; [unrolled: 1-line block ×18, first 2 shown]
	s_waitcnt vmcnt(24)
	v_mul_f64 v[106:107], v[54:55], v[10:11]
	v_fmac_f64_e32 v[106:107], v[52:53], v[8:9]
	v_mul_f64 v[52:53], v[52:53], v[10:11]
	v_fma_f64 v[108:109], v[54:55], v[8:9], -v[52:53]
	ds_write_b128 v211, v[106:109]
	s_waitcnt vmcnt(22)
	v_mul_f64 v[52:53], v[58:59], v[46:47]
	v_mul_f64 v[54:55], v[56:57], v[46:47]
	v_fmac_f64_e32 v[52:53], v[56:57], v[44:45]
	v_fma_f64 v[54:55], v[58:59], v[44:45], -v[54:55]
	ds_write_b128 v211, v[52:55] offset:208
	s_waitcnt vmcnt(20)
	v_mul_f64 v[52:53], v[62:63], v[18:19]
	v_mul_f64 v[54:55], v[60:61], v[18:19]
	v_fmac_f64_e32 v[52:53], v[60:61], v[16:17]
	v_fma_f64 v[54:55], v[62:63], v[16:17], -v[54:55]
	ds_write_b128 v211, v[52:55] offset:416
	;; [unrolled: 6-line block ×12, first 2 shown]
	s_waitcnt lgkmcnt(0)
	s_barrier
	ds_read_b128 v[84:87], v211
	ds_read_b128 v[98:101], v211 offset:208
	ds_read_b128 v[92:95], v211 offset:416
	;; [unrolled: 1-line block ×12, first 2 shown]
	s_waitcnt lgkmcnt(11)
	v_add_f64 v[52:53], v[84:85], v[98:99]
	v_add_f64 v[54:55], v[86:87], v[100:101]
	s_waitcnt lgkmcnt(10)
	v_add_f64 v[52:53], v[52:53], v[92:93]
	v_add_f64 v[54:55], v[54:55], v[94:95]
	;; [unrolled: 3-line block ×10, first 2 shown]
	s_waitcnt lgkmcnt(1)
	v_add_f64 v[52:53], v[52:53], v[102:103]
	s_waitcnt lgkmcnt(0)
	v_add_f64 v[112:113], v[100:101], v[108:109]
	v_add_f64 v[100:101], v[100:101], -v[108:109]
	v_add_f64 v[54:55], v[54:55], v[104:105]
	v_add_f64 v[52:53], v[52:53], v[106:107]
	;; [unrolled: 1-line block ×3, first 2 shown]
	v_add_f64 v[98:99], v[98:99], -v[106:107]
	v_mul_f64 v[106:107], v[100:101], s[20:21]
	s_mov_b32 s23, 0x3fec55a7
	v_mul_f64 v[118:119], v[100:101], s[14:15]
	s_mov_b32 s17, 0x3fe22d96
	;; [unrolled: 2-line block ×6, first 2 shown]
	v_add_f64 v[54:55], v[54:55], v[108:109]
	v_fma_f64 v[108:109], v[110:111], s[22:23], -v[106:107]
	v_mul_f64 v[114:115], v[98:99], s[20:21]
	v_fmac_f64_e32 v[106:107], s[22:23], v[110:111]
	v_fma_f64 v[120:121], v[110:111], s[16:17], -v[118:119]
	v_mul_f64 v[122:123], v[98:99], s[14:15]
	v_fmac_f64_e32 v[118:119], s[16:17], v[110:111]
	;; [unrolled: 3-line block ×6, first 2 shown]
	v_add_f64 v[108:109], v[84:85], v[108:109]
	v_fma_f64 v[116:117], s[22:23], v[112:113], v[114:115]
	v_add_f64 v[106:107], v[84:85], v[106:107]
	v_fma_f64 v[114:115], v[112:113], s[22:23], -v[114:115]
	v_add_f64 v[120:121], v[84:85], v[120:121]
	v_fma_f64 v[124:125], s[16:17], v[112:113], v[122:123]
	v_add_f64 v[118:119], v[84:85], v[118:119]
	v_fma_f64 v[122:123], v[112:113], s[16:17], -v[122:123]
	;; [unrolled: 4-line block ×6, first 2 shown]
	v_add_f64 v[100:101], v[94:95], v[104:105]
	v_add_f64 v[94:95], v[94:95], -v[104:105]
	v_add_f64 v[116:117], v[86:87], v[116:117]
	v_add_f64 v[114:115], v[86:87], v[114:115]
	;; [unrolled: 1-line block ×13, first 2 shown]
	v_add_f64 v[92:93], v[92:93], -v[102:103]
	v_mul_f64 v[102:103], v[94:95], s[14:15]
	v_fma_f64 v[104:105], v[98:99], s[16:17], -v[102:103]
	v_add_f64 v[104:105], v[104:105], v[108:109]
	v_mul_f64 v[108:109], v[92:93], s[14:15]
	v_fmac_f64_e32 v[102:103], s[16:17], v[98:99]
	v_fma_f64 v[112:113], s[16:17], v[100:101], v[108:109]
	v_add_f64 v[102:103], v[102:103], v[106:107]
	v_fma_f64 v[106:107], v[100:101], s[16:17], -v[108:109]
	v_mul_f64 v[108:109], v[94:95], s[18:19]
	v_add_f64 v[112:113], v[112:113], v[116:117]
	v_add_f64 v[106:107], v[106:107], v[114:115]
	v_fma_f64 v[114:115], v[98:99], s[24:25], -v[108:109]
	v_mul_f64 v[116:117], v[92:93], s[18:19]
	v_fmac_f64_e32 v[108:109], s[24:25], v[98:99]
	v_add_f64 v[114:115], v[114:115], v[120:121]
	v_fma_f64 v[120:121], s[24:25], v[100:101], v[116:117]
	v_add_f64 v[108:109], v[108:109], v[118:119]
	v_fma_f64 v[116:117], v[100:101], s[24:25], -v[116:117]
	v_mul_f64 v[118:119], v[94:95], s[34:35]
	v_add_f64 v[120:121], v[120:121], v[124:125]
	v_add_f64 v[116:117], v[116:117], v[122:123]
	v_fma_f64 v[122:123], v[98:99], s[36:37], -v[118:119]
	v_mul_f64 v[124:125], v[92:93], s[34:35]
	v_fmac_f64_e32 v[118:119], s[36:37], v[98:99]
	s_mov_b32 s39, 0x3fe5384d
	s_mov_b32 s38, s26
	v_add_f64 v[122:123], v[122:123], v[128:129]
	v_fma_f64 v[128:129], s[36:37], v[100:101], v[124:125]
	v_add_f64 v[118:119], v[118:119], v[126:127]
	v_fma_f64 v[124:125], v[100:101], s[36:37], -v[124:125]
	v_mul_f64 v[126:127], v[94:95], s[38:39]
	v_add_f64 v[128:129], v[128:129], v[132:133]
	v_add_f64 v[124:125], v[124:125], v[130:131]
	v_fma_f64 v[130:131], v[98:99], s[28:29], -v[126:127]
	v_mul_f64 v[132:133], v[92:93], s[38:39]
	v_fmac_f64_e32 v[126:127], s[28:29], v[98:99]
	s_mov_b32 s31, 0x3fefc445
	s_mov_b32 s30, s2
	v_add_f64 v[130:131], v[130:131], v[138:139]
	v_fma_f64 v[138:139], s[28:29], v[100:101], v[132:133]
	v_add_f64 v[126:127], v[126:127], v[134:135]
	v_fma_f64 v[132:133], v[100:101], s[28:29], -v[132:133]
	v_mul_f64 v[134:135], v[94:95], s[30:31]
	s_mov_b32 s43, 0x3fddbe06
	s_mov_b32 s42, s20
	v_add_f64 v[138:139], v[138:139], v[142:143]
	v_add_f64 v[132:133], v[132:133], v[140:141]
	v_fma_f64 v[140:141], v[98:99], s[12:13], -v[134:135]
	v_mul_f64 v[142:143], v[92:93], s[30:31]
	v_fmac_f64_e32 v[134:135], s[12:13], v[98:99]
	v_mul_f64 v[94:95], v[94:95], s[42:43]
	v_add_f64 v[140:141], v[140:141], v[146:147]
	v_fma_f64 v[146:147], s[12:13], v[100:101], v[142:143]
	v_add_f64 v[134:135], v[134:135], v[144:145]
	v_fma_f64 v[142:143], v[100:101], s[12:13], -v[142:143]
	v_fma_f64 v[144:145], v[98:99], s[22:23], -v[94:95]
	v_mul_f64 v[92:93], v[92:93], s[42:43]
	v_fmac_f64_e32 v[94:95], s[22:23], v[98:99]
	v_add_f64 v[142:143], v[142:143], v[148:149]
	v_fma_f64 v[148:149], s[22:23], v[100:101], v[92:93]
	v_add_f64 v[84:85], v[94:95], v[84:85]
	v_fma_f64 v[92:93], v[100:101], s[22:23], -v[92:93]
	v_add_f64 v[94:95], v[82:83], v[90:91]
	v_add_f64 v[82:83], v[82:83], -v[90:91]
	v_add_f64 v[86:87], v[92:93], v[86:87]
	v_add_f64 v[92:93], v[80:81], v[88:89]
	v_add_f64 v[80:81], v[80:81], -v[88:89]
	v_mul_f64 v[88:89], v[82:83], s[2:3]
	v_fma_f64 v[90:91], v[92:93], s[12:13], -v[88:89]
	v_mul_f64 v[98:99], v[80:81], s[2:3]
	v_fmac_f64_e32 v[88:89], s[12:13], v[92:93]
	v_fma_f64 v[100:101], s[12:13], v[94:95], v[98:99]
	v_add_f64 v[88:89], v[88:89], v[102:103]
	v_fma_f64 v[98:99], v[94:95], s[12:13], -v[98:99]
	v_mul_f64 v[102:103], v[82:83], s[34:35]
	v_add_f64 v[90:91], v[90:91], v[104:105]
	v_add_f64 v[98:99], v[98:99], v[106:107]
	v_fma_f64 v[104:105], v[92:93], s[36:37], -v[102:103]
	v_mul_f64 v[106:107], v[80:81], s[34:35]
	v_fmac_f64_e32 v[102:103], s[36:37], v[92:93]
	s_mov_b32 s41, 0x3fedeba7
	s_mov_b32 s40, s18
	v_add_f64 v[100:101], v[100:101], v[112:113]
	v_fma_f64 v[112:113], s[36:37], v[94:95], v[106:107]
	v_add_f64 v[102:103], v[102:103], v[108:109]
	v_fma_f64 v[106:107], v[94:95], s[36:37], -v[106:107]
	v_mul_f64 v[108:109], v[82:83], s[40:41]
	v_add_f64 v[104:105], v[104:105], v[114:115]
	v_add_f64 v[106:107], v[106:107], v[116:117]
	v_fma_f64 v[114:115], v[92:93], s[24:25], -v[108:109]
	v_mul_f64 v[116:117], v[80:81], s[40:41]
	v_fmac_f64_e32 v[108:109], s[24:25], v[92:93]
	v_add_f64 v[112:113], v[112:113], v[120:121]
	v_fma_f64 v[120:121], s[24:25], v[94:95], v[116:117]
	v_add_f64 v[108:109], v[108:109], v[118:119]
	v_fma_f64 v[116:117], v[94:95], s[24:25], -v[116:117]
	v_mul_f64 v[118:119], v[82:83], s[42:43]
	v_add_f64 v[114:115], v[114:115], v[122:123]
	v_add_f64 v[116:117], v[116:117], v[124:125]
	v_fma_f64 v[122:123], v[92:93], s[22:23], -v[118:119]
	v_mul_f64 v[124:125], v[80:81], s[42:43]
	v_fmac_f64_e32 v[118:119], s[22:23], v[92:93]
	v_add_f64 v[120:121], v[120:121], v[128:129]
	v_fma_f64 v[128:129], s[22:23], v[94:95], v[124:125]
	v_add_f64 v[118:119], v[118:119], v[126:127]
	v_fma_f64 v[124:125], v[94:95], s[22:23], -v[124:125]
	v_mul_f64 v[126:127], v[82:83], s[14:15]
	v_add_f64 v[122:123], v[122:123], v[130:131]
	v_add_f64 v[124:125], v[124:125], v[132:133]
	v_fma_f64 v[130:131], v[92:93], s[16:17], -v[126:127]
	v_mul_f64 v[132:133], v[80:81], s[14:15]
	v_mul_f64 v[80:81], v[80:81], s[26:27]
	v_add_f64 v[130:131], v[130:131], v[140:141]
	v_fmac_f64_e32 v[126:127], s[16:17], v[92:93]
	v_mul_f64 v[82:83], v[82:83], s[26:27]
	v_fma_f64 v[140:141], s[28:29], v[94:95], v[80:81]
	v_fma_f64 v[80:81], v[94:95], s[28:29], -v[80:81]
	v_add_f64 v[126:127], v[126:127], v[134:135]
	v_fma_f64 v[134:135], v[92:93], s[28:29], -v[82:83]
	v_fmac_f64_e32 v[82:83], s[28:29], v[92:93]
	v_add_f64 v[80:81], v[80:81], v[86:87]
	v_add_f64 v[86:87], v[74:75], v[78:79]
	v_add_f64 v[74:75], v[74:75], -v[78:79]
	v_add_f64 v[82:83], v[82:83], v[84:85]
	v_add_f64 v[84:85], v[72:73], v[76:77]
	v_add_f64 v[72:73], v[72:73], -v[76:77]
	v_mul_f64 v[76:77], v[74:75], s[18:19]
	v_fma_f64 v[78:79], v[84:85], s[24:25], -v[76:77]
	v_add_f64 v[78:79], v[78:79], v[90:91]
	v_mul_f64 v[90:91], v[72:73], s[18:19]
	v_fmac_f64_e32 v[76:77], s[24:25], v[84:85]
	v_fma_f64 v[92:93], s[24:25], v[86:87], v[90:91]
	v_add_f64 v[76:77], v[76:77], v[88:89]
	v_fma_f64 v[88:89], v[86:87], s[24:25], -v[90:91]
	v_mul_f64 v[90:91], v[74:75], s[38:39]
	v_add_f64 v[128:129], v[128:129], v[138:139]
	v_fma_f64 v[138:139], s[16:17], v[94:95], v[132:133]
	v_fma_f64 v[132:133], v[94:95], s[16:17], -v[132:133]
	v_fma_f64 v[94:95], v[84:85], s[28:29], -v[90:91]
	v_fmac_f64_e32 v[90:91], s[28:29], v[84:85]
	v_add_f64 v[88:89], v[88:89], v[98:99]
	v_mul_f64 v[98:99], v[72:73], s[38:39]
	v_add_f64 v[90:91], v[90:91], v[102:103]
	v_mul_f64 v[102:103], v[74:75], s[42:43]
	v_add_f64 v[92:93], v[92:93], v[100:101]
	v_add_f64 v[94:95], v[94:95], v[104:105]
	v_fma_f64 v[100:101], s[28:29], v[86:87], v[98:99]
	v_fma_f64 v[98:99], v[86:87], s[28:29], -v[98:99]
	v_fma_f64 v[104:105], v[84:85], s[22:23], -v[102:103]
	v_fmac_f64_e32 v[102:103], s[22:23], v[84:85]
	v_add_f64 v[98:99], v[98:99], v[106:107]
	v_mul_f64 v[106:107], v[72:73], s[42:43]
	v_add_f64 v[102:103], v[102:103], v[108:109]
	v_mul_f64 v[108:109], v[74:75], s[2:3]
	v_add_f64 v[100:101], v[100:101], v[112:113]
	v_add_f64 v[104:105], v[104:105], v[114:115]
	v_fma_f64 v[112:113], s[22:23], v[86:87], v[106:107]
	v_fma_f64 v[106:107], v[86:87], s[22:23], -v[106:107]
	v_fma_f64 v[114:115], v[84:85], s[12:13], -v[108:109]
	v_fmac_f64_e32 v[108:109], s[12:13], v[84:85]
	s_mov_b32 s47, 0x3fcea1e5
	s_mov_b32 s46, s34
	v_add_f64 v[106:107], v[106:107], v[116:117]
	v_mul_f64 v[116:117], v[72:73], s[2:3]
	v_add_f64 v[108:109], v[108:109], v[118:119]
	v_mul_f64 v[118:119], v[74:75], s[46:47]
	s_mov_b32 s45, 0x3fea55e2
	s_mov_b32 s44, s14
	v_add_f64 v[112:113], v[112:113], v[120:121]
	v_add_f64 v[114:115], v[114:115], v[122:123]
	v_fma_f64 v[120:121], s[12:13], v[86:87], v[116:117]
	v_fma_f64 v[116:117], v[86:87], s[12:13], -v[116:117]
	v_fma_f64 v[122:123], v[84:85], s[36:37], -v[118:119]
	v_fmac_f64_e32 v[118:119], s[36:37], v[84:85]
	v_mul_f64 v[74:75], v[74:75], s[44:45]
	v_add_f64 v[116:117], v[116:117], v[124:125]
	v_mul_f64 v[124:125], v[72:73], s[46:47]
	v_add_f64 v[118:119], v[118:119], v[126:127]
	v_fma_f64 v[126:127], v[84:85], s[16:17], -v[74:75]
	v_mul_f64 v[72:73], v[72:73], s[44:45]
	v_fmac_f64_e32 v[74:75], s[16:17], v[84:85]
	v_add_f64 v[122:123], v[122:123], v[130:131]
	v_fma_f64 v[130:131], s[16:17], v[86:87], v[72:73]
	v_add_f64 v[74:75], v[74:75], v[82:83]
	v_fma_f64 v[72:73], v[86:87], s[16:17], -v[72:73]
	v_add_f64 v[82:83], v[66:67], v[70:71]
	v_add_f64 v[66:67], v[66:67], -v[70:71]
	v_add_f64 v[72:73], v[72:73], v[80:81]
	v_add_f64 v[80:81], v[64:65], v[68:69]
	v_add_f64 v[64:65], v[64:65], -v[68:69]
	v_mul_f64 v[68:69], v[66:67], s[26:27]
	v_fma_f64 v[70:71], v[80:81], s[28:29], -v[68:69]
	v_add_f64 v[70:71], v[70:71], v[78:79]
	v_mul_f64 v[78:79], v[64:65], s[26:27]
	v_fmac_f64_e32 v[68:69], s[28:29], v[80:81]
	v_fma_f64 v[84:85], s[28:29], v[82:83], v[78:79]
	v_add_f64 v[68:69], v[68:69], v[76:77]
	v_fma_f64 v[76:77], v[82:83], s[28:29], -v[78:79]
	v_mul_f64 v[78:79], v[66:67], s[30:31]
	v_add_f64 v[120:121], v[120:121], v[128:129]
	v_fma_f64 v[128:129], s[36:37], v[86:87], v[124:125]
	v_fma_f64 v[124:125], v[86:87], s[36:37], -v[124:125]
	v_fma_f64 v[86:87], v[80:81], s[12:13], -v[78:79]
	v_fmac_f64_e32 v[78:79], s[12:13], v[80:81]
	v_add_f64 v[76:77], v[76:77], v[88:89]
	v_mul_f64 v[88:89], v[64:65], s[30:31]
	v_add_f64 v[78:79], v[78:79], v[90:91]
	v_mul_f64 v[90:91], v[66:67], s[14:15]
	v_add_f64 v[84:85], v[84:85], v[92:93]
	v_add_f64 v[86:87], v[86:87], v[94:95]
	v_fma_f64 v[92:93], s[12:13], v[82:83], v[88:89]
	v_fma_f64 v[88:89], v[82:83], s[12:13], -v[88:89]
	v_fma_f64 v[94:95], v[80:81], s[16:17], -v[90:91]
	v_fmac_f64_e32 v[90:91], s[16:17], v[80:81]
	v_add_f64 v[88:89], v[88:89], v[98:99]
	v_mul_f64 v[98:99], v[64:65], s[14:15]
	v_add_f64 v[90:91], v[90:91], v[102:103]
	v_mul_f64 v[102:103], v[66:67], s[46:47]
	v_add_f64 v[92:93], v[92:93], v[100:101]
	v_add_f64 v[94:95], v[94:95], v[104:105]
	v_fma_f64 v[100:101], s[16:17], v[82:83], v[98:99]
	v_fma_f64 v[98:99], v[82:83], s[16:17], -v[98:99]
	v_fma_f64 v[104:105], v[80:81], s[36:37], -v[102:103]
	v_fmac_f64_e32 v[102:103], s[36:37], v[80:81]
	v_add_f64 v[144:145], v[144:145], v[152:153]
	v_add_f64 v[98:99], v[98:99], v[106:107]
	v_mul_f64 v[106:107], v[64:65], s[46:47]
	v_add_f64 v[102:103], v[102:103], v[108:109]
	v_mul_f64 v[108:109], v[66:67], s[42:43]
	v_add_f64 v[146:147], v[146:147], v[150:151]
	v_add_f64 v[110:111], v[148:149], v[110:111]
	;; [unrolled: 1-line block ×6, first 2 shown]
	v_fma_f64 v[112:113], s[36:37], v[82:83], v[106:107]
	v_fma_f64 v[106:107], v[82:83], s[36:37], -v[106:107]
	v_fma_f64 v[114:115], v[80:81], s[22:23], -v[108:109]
	v_fmac_f64_e32 v[108:109], s[22:23], v[80:81]
	v_mul_f64 v[66:67], v[66:67], s[18:19]
	v_add_f64 v[138:139], v[138:139], v[146:147]
	v_add_f64 v[110:111], v[140:141], v[110:111]
	;; [unrolled: 1-line block ×5, first 2 shown]
	v_mul_f64 v[116:117], v[64:65], s[42:43]
	v_add_f64 v[108:109], v[108:109], v[118:119]
	v_fma_f64 v[118:119], v[80:81], s[24:25], -v[66:67]
	v_add_f64 v[132:133], v[58:59], -v[62:63]
	v_add_f64 v[128:129], v[128:129], v[138:139]
	v_add_f64 v[110:111], v[130:131], v[110:111]
	;; [unrolled: 1-line block ×3, first 2 shown]
	v_fma_f64 v[120:121], s[22:23], v[82:83], v[116:117]
	v_add_f64 v[118:119], v[118:119], v[126:127]
	v_add_f64 v[126:127], v[56:57], v[60:61]
	v_add_f64 v[130:131], v[56:57], -v[60:61]
	v_mul_f64 v[60:61], v[132:133], s[34:35]
	v_add_f64 v[120:121], v[120:121], v[128:129]
	v_mul_f64 v[64:65], v[64:65], s[18:19]
	v_add_f64 v[128:129], v[58:59], v[62:63]
	v_fma_f64 v[56:57], v[126:127], s[36:37], -v[60:61]
	v_mul_f64 v[62:63], v[130:131], s[34:35]
	v_fmac_f64_e32 v[60:61], s[36:37], v[126:127]
	v_add_f64 v[114:115], v[114:115], v[122:123]
	v_fma_f64 v[116:117], v[82:83], s[22:23], -v[116:117]
	v_fma_f64 v[122:123], s[24:25], v[82:83], v[64:65]
	v_fma_f64 v[64:65], v[82:83], s[24:25], -v[64:65]
	v_fma_f64 v[58:59], s[36:37], v[128:129], v[62:63]
	v_add_f64 v[60:61], v[60:61], v[68:69]
	v_fma_f64 v[62:63], v[128:129], s[36:37], -v[62:63]
	v_mul_f64 v[68:69], v[132:133], s[42:43]
	v_add_f64 v[116:117], v[116:117], v[124:125]
	v_fmac_f64_e32 v[66:67], s[24:25], v[80:81]
	v_add_f64 v[124:125], v[64:65], v[72:73]
	v_add_f64 v[56:57], v[56:57], v[70:71]
	;; [unrolled: 1-line block ×4, first 2 shown]
	v_fma_f64 v[64:65], v[126:127], s[22:23], -v[68:69]
	v_mul_f64 v[70:71], v[130:131], s[42:43]
	v_fmac_f64_e32 v[68:69], s[22:23], v[126:127]
	v_mul_f64 v[76:77], v[132:133], s[26:27]
	v_mul_f64 v[84:85], v[132:133], s[44:45]
	v_add_f64 v[110:111], v[122:123], v[110:111]
	v_add_f64 v[122:123], v[66:67], v[74:75]
	v_fma_f64 v[66:67], s[22:23], v[128:129], v[70:71]
	v_add_f64 v[68:69], v[68:69], v[78:79]
	v_fma_f64 v[72:73], v[126:127], s[28:29], -v[76:77]
	v_mul_f64 v[78:79], v[130:131], s[26:27]
	v_fma_f64 v[80:81], v[126:127], s[16:17], -v[84:85]
	v_fmac_f64_e32 v[84:85], s[16:17], v[126:127]
	v_add_f64 v[64:65], v[64:65], v[86:87]
	v_add_f64 v[66:67], v[66:67], v[92:93]
	v_fma_f64 v[70:71], v[128:129], s[22:23], -v[70:71]
	v_add_f64 v[72:73], v[72:73], v[94:95]
	v_fma_f64 v[74:75], s[28:29], v[128:129], v[78:79]
	v_fmac_f64_e32 v[76:77], s[28:29], v[126:127]
	v_fma_f64 v[78:79], v[128:129], s[28:29], -v[78:79]
	v_add_f64 v[80:81], v[80:81], v[104:105]
	v_mul_f64 v[86:87], v[130:131], s[44:45]
	v_add_f64 v[84:85], v[84:85], v[102:103]
	v_mul_f64 v[92:93], v[132:133], s[18:19]
	v_mul_f64 v[94:95], v[130:131], s[18:19]
	;; [unrolled: 1-line block ×4, first 2 shown]
	v_mul_lo_u16_e32 v97, 13, v210
	v_add_f64 v[70:71], v[70:71], v[88:89]
	v_add_f64 v[74:75], v[74:75], v[100:101]
	v_add_f64 v[76:77], v[76:77], v[90:91]
	v_add_f64 v[78:79], v[78:79], v[98:99]
	v_fma_f64 v[82:83], s[16:17], v[128:129], v[86:87]
	v_fma_f64 v[86:87], v[128:129], s[16:17], -v[86:87]
	v_fma_f64 v[88:89], v[126:127], s[24:25], -v[92:93]
	v_fma_f64 v[90:91], s[24:25], v[128:129], v[94:95]
	v_fmac_f64_e32 v[92:93], s[24:25], v[126:127]
	v_fma_f64 v[94:95], v[128:129], s[24:25], -v[94:95]
	v_fma_f64 v[98:99], v[126:127], s[12:13], -v[102:103]
	v_fma_f64 v[100:101], s[12:13], v[128:129], v[104:105]
	v_fmac_f64_e32 v[102:103], s[12:13], v[126:127]
	v_fma_f64 v[104:105], v[128:129], s[12:13], -v[104:105]
	v_lshl_add_u32 v213, v97, 4, v96
	v_add_f64 v[82:83], v[82:83], v[112:113]
	v_add_f64 v[86:87], v[86:87], v[106:107]
	;; [unrolled: 1-line block ×10, first 2 shown]
	s_barrier
	ds_write_b128 v213, v[52:55]
	ds_write_b128 v213, v[56:59] offset:16
	ds_write_b128 v213, v[64:67] offset:32
	;; [unrolled: 1-line block ×12, first 2 shown]
	v_mul_u32_u24_e32 v52, 12, v210
	v_lshlrev_b32_e32 v100, 4, v52
	s_waitcnt lgkmcnt(0)
	s_barrier
	global_load_dwordx4 v[64:67], v100, s[10:11]
	global_load_dwordx4 v[60:63], v100, s[10:11] offset:16
	global_load_dwordx4 v[56:59], v100, s[10:11] offset:32
	global_load_dwordx4 v[52:55], v100, s[10:11] offset:48
	global_load_dwordx4 v[80:83], v100, s[10:11] offset:64
	global_load_dwordx4 v[76:79], v100, s[10:11] offset:80
	global_load_dwordx4 v[72:75], v100, s[10:11] offset:96
	global_load_dwordx4 v[68:71], v100, s[10:11] offset:112
	global_load_dwordx4 v[96:99], v100, s[10:11] offset:128
	global_load_dwordx4 v[92:95], v100, s[10:11] offset:144
	global_load_dwordx4 v[88:91], v100, s[10:11] offset:160
	global_load_dwordx4 v[84:87], v100, s[10:11] offset:176
	ds_read_b128 v[100:103], v211 offset:208
	ds_read_b128 v[104:107], v211 offset:416
	;; [unrolled: 1-line block ×11, first 2 shown]
	ds_read_b128 v[150:153], v211
	s_load_dwordx2 s[0:1], s[0:1], 0x38
	s_waitcnt vmcnt(11) lgkmcnt(0)
	v_mul_f64 v[146:147], v[102:103], v[66:67]
	v_fma_f64 v[146:147], v[100:101], v[64:65], -v[146:147]
	v_mul_f64 v[148:149], v[100:101], v[66:67]
	s_waitcnt vmcnt(10)
	v_mul_f64 v[100:101], v[106:107], v[62:63]
	v_fma_f64 v[158:159], v[104:105], v[60:61], -v[100:101]
	s_waitcnt vmcnt(9)
	v_mul_f64 v[100:101], v[110:111], v[58:59]
	v_fma_f64 v[186:187], v[108:109], v[56:57], -v[100:101]
	s_waitcnt vmcnt(8)
	v_mul_f64 v[100:101], v[114:115], v[54:55]
	v_fma_f64 v[160:161], v[112:113], v[52:53], -v[100:101]
	v_mul_f64 v[172:173], v[112:113], v[54:55]
	s_waitcnt vmcnt(7)
	v_mul_f64 v[100:101], v[118:119], v[82:83]
	v_mul_f64 v[180:181], v[104:105], v[62:63]
	v_fmac_f64_e32 v[172:173], v[114:115], v[52:53]
	v_fma_f64 v[114:115], v[116:117], v[80:81], -v[100:101]
	s_waitcnt vmcnt(6)
	v_mul_f64 v[100:101], v[122:123], v[78:79]
	v_fmac_f64_e32 v[180:181], v[106:107], v[60:61]
	v_mul_f64 v[188:189], v[108:109], v[58:59]
	v_fma_f64 v[106:107], v[120:121], v[76:77], -v[100:101]
	s_waitcnt vmcnt(5)
	v_mul_f64 v[100:101], v[126:127], v[74:75]
	v_fmac_f64_e32 v[188:189], v[110:111], v[56:57]
	v_mul_f64 v[112:113], v[116:117], v[82:83]
	v_fma_f64 v[110:111], v[124:125], v[72:73], -v[100:101]
	s_waitcnt vmcnt(4)
	v_mul_f64 v[100:101], v[130:131], v[70:71]
	v_fmac_f64_e32 v[112:113], v[118:119], v[80:81]
	v_fma_f64 v[118:119], v[128:129], v[68:69], -v[100:101]
	s_waitcnt vmcnt(3)
	v_mul_f64 v[100:101], v[134:135], v[98:99]
	v_fma_f64 v[170:171], v[132:133], v[96:97], -v[100:101]
	s_waitcnt vmcnt(2)
	v_mul_f64 v[100:101], v[140:141], v[94:95]
	v_fmac_f64_e32 v[148:149], v[102:103], v[64:65]
	v_fma_f64 v[194:195], v[138:139], v[92:93], -v[100:101]
	ds_read_b128 v[100:103], v211 offset:2496
	v_mul_f64 v[104:105], v[120:121], v[78:79]
	v_fmac_f64_e32 v[104:105], v[122:123], v[76:77]
	v_mul_f64 v[108:109], v[124:125], v[74:75]
	s_waitcnt vmcnt(1)
	v_mul_f64 v[120:121], v[144:145], v[90:91]
	s_waitcnt vmcnt(0) lgkmcnt(0)
	v_mul_f64 v[122:123], v[100:101], v[86:87]
	v_fmac_f64_e32 v[108:109], v[126:127], v[72:73]
	v_fma_f64 v[126:127], v[142:143], v[88:89], -v[120:121]
	v_mul_f64 v[120:121], v[102:103], v[86:87]
	v_fmac_f64_e32 v[122:123], v[102:103], v[84:85]
	v_add_f64 v[102:103], v[152:153], v[148:149]
	v_fma_f64 v[120:121], v[100:101], v[84:85], -v[120:121]
	v_add_f64 v[100:101], v[150:151], v[146:147]
	v_add_f64 v[102:103], v[102:103], v[180:181]
	;; [unrolled: 1-line block ×8, first 2 shown]
	v_mul_f64 v[116:117], v[128:129], v[70:71]
	v_add_f64 v[100:101], v[100:101], v[114:115]
	v_add_f64 v[102:103], v[102:103], v[104:105]
	v_fmac_f64_e32 v[116:117], v[130:131], v[68:69]
	v_mul_f64 v[178:179], v[132:133], v[98:99]
	v_add_f64 v[100:101], v[100:101], v[106:107]
	v_add_f64 v[102:103], v[102:103], v[108:109]
	v_fmac_f64_e32 v[178:179], v[134:135], v[96:97]
	;; [unrolled: 4-line block ×4, first 2 shown]
	v_add_f64 v[100:101], v[100:101], v[170:171]
	v_add_f64 v[102:103], v[102:103], v[196:197]
	;; [unrolled: 1-line block ×7, first 2 shown]
	v_add_f64 v[122:123], v[148:149], -v[122:123]
	v_add_f64 v[100:101], v[100:101], v[120:121]
	v_add_f64 v[124:125], v[146:147], v[120:121]
	v_add_f64 v[120:121], v[146:147], -v[120:121]
	v_mul_f64 v[130:131], v[122:123], s[20:21]
	v_mul_f64 v[138:139], v[122:123], s[14:15]
	;; [unrolled: 1-line block ×6, first 2 shown]
	v_fma_f64 v[132:133], v[124:125], s[22:23], -v[130:131]
	v_fmac_f64_e32 v[130:131], s[22:23], v[124:125]
	v_fma_f64 v[140:141], v[124:125], s[16:17], -v[138:139]
	v_fmac_f64_e32 v[138:139], s[16:17], v[124:125]
	;; [unrolled: 2-line block ×6, first 2 shown]
	v_mul_f64 v[124:125], v[120:121], s[20:21]
	v_fma_f64 v[154:155], s[22:23], v[128:129], v[124:125]
	v_fma_f64 v[124:125], v[128:129], s[22:23], -v[124:125]
	v_mul_f64 v[156:157], v[120:121], s[14:15]
	v_mul_f64 v[168:169], v[120:121], s[18:19]
	v_add_f64 v[222:223], v[150:151], v[132:133]
	v_add_f64 v[198:199], v[152:153], v[124:125]
	;; [unrolled: 1-line block ×3, first 2 shown]
	v_add_f64 v[132:133], v[158:159], -v[126:127]
	v_add_f64 v[126:127], v[180:181], v[134:135]
	v_add_f64 v[134:135], v[180:181], -v[134:135]
	v_fma_f64 v[162:163], s[16:17], v[128:129], v[156:157]
	v_mul_f64 v[164:165], v[120:121], s[2:3]
	v_fma_f64 v[208:209], s[24:25], v[128:129], v[168:169]
	v_fma_f64 v[214:215], v[128:129], s[24:25], -v[168:169]
	v_mul_f64 v[168:169], v[120:121], s[26:27]
	v_mul_f64 v[120:121], v[120:121], s[34:35]
	v_add_f64 v[200:201], v[150:151], v[130:131]
	v_add_f64 v[130:131], v[150:151], v[206:207]
	v_mul_f64 v[206:207], v[134:135], s[14:15]
	v_fma_f64 v[156:157], v[128:129], s[16:17], -v[156:157]
	v_fma_f64 v[166:167], s[12:13], v[128:129], v[164:165]
	v_fma_f64 v[164:165], v[128:129], s[12:13], -v[164:165]
	v_fma_f64 v[216:217], s[28:29], v[128:129], v[168:169]
	v_fma_f64 v[218:219], v[128:129], s[28:29], -v[168:169]
	v_fma_f64 v[220:221], s[36:37], v[128:129], v[120:121]
	v_fma_f64 v[120:121], v[128:129], s[36:37], -v[120:121]
	v_add_f64 v[190:191], v[152:153], v[162:163]
	v_add_f64 v[168:169], v[150:151], v[142:143]
	;; [unrolled: 1-line block ×3, first 2 shown]
	v_fma_f64 v[142:143], v[124:125], s[16:17], -v[206:207]
	v_mul_f64 v[208:209], v[132:133], s[14:15]
	v_add_f64 v[224:225], v[152:153], v[154:155]
	v_add_f64 v[184:185], v[150:151], v[138:139]
	;; [unrolled: 1-line block ×12, first 2 shown]
	v_fma_f64 v[142:143], s[16:17], v[126:127], v[208:209]
	v_add_f64 v[152:153], v[188:189], -v[196:197]
	v_add_f64 v[192:193], v[150:151], v[140:141]
	v_add_f64 v[176:177], v[150:151], v[144:145]
	;; [unrolled: 1-line block ×8, first 2 shown]
	v_add_f64 v[150:151], v[186:187], -v[194:195]
	v_mul_f64 v[214:215], v[152:153], s[2:3]
	v_add_f64 v[144:145], v[188:189], v[196:197]
	v_fma_f64 v[186:187], v[142:143], s[12:13], -v[214:215]
	v_mul_f64 v[216:217], v[150:151], s[2:3]
	v_add_f64 v[186:187], v[186:187], v[158:159]
	v_fma_f64 v[158:159], s[12:13], v[144:145], v[216:217]
	v_add_f64 v[180:181], v[158:159], v[180:181]
	v_add_f64 v[158:159], v[160:161], v[170:171]
	v_add_f64 v[170:171], v[160:161], -v[170:171]
	v_add_f64 v[160:161], v[172:173], v[178:179]
	v_add_f64 v[172:173], v[172:173], -v[178:179]
	v_mul_f64 v[218:219], v[172:173], s[18:19]
	v_fma_f64 v[178:179], v[158:159], s[24:25], -v[218:219]
	v_mul_f64 v[220:221], v[170:171], s[18:19]
	v_add_f64 v[194:195], v[178:179], v[186:187]
	v_fma_f64 v[178:179], s[24:25], v[160:161], v[220:221]
	v_add_f64 v[186:187], v[114:115], -v[118:119]
	v_add_f64 v[188:189], v[112:113], -v[116:117]
	v_add_f64 v[196:197], v[178:179], v[180:181]
	v_add_f64 v[178:179], v[114:115], v[118:119]
	v_add_f64 v[180:181], v[112:113], v[116:117]
	v_mul_f64 v[112:113], v[188:189], s[26:27]
	v_mul_f64 v[116:117], v[186:187], s[26:27]
	v_fma_f64 v[114:115], v[178:179], s[28:29], -v[112:113]
	v_fma_f64 v[118:119], s[28:29], v[180:181], v[116:117]
	v_add_f64 v[204:205], v[104:105], -v[108:109]
	v_add_f64 v[114:115], v[114:115], v[194:195]
	v_add_f64 v[118:119], v[118:119], v[196:197]
	v_add_f64 v[196:197], v[106:107], v[110:111]
	v_add_f64 v[194:195], v[104:105], v[108:109]
	v_mul_f64 v[104:105], v[204:205], s[34:35]
	v_add_f64 v[202:203], v[106:107], -v[110:111]
	v_fma_f64 v[106:107], v[196:197], s[36:37], -v[104:105]
	v_add_f64 v[108:109], v[106:107], v[114:115]
	v_mul_f64 v[106:107], v[202:203], s[34:35]
	v_fma_f64 v[110:111], s[36:37], v[194:195], v[106:107]
	v_fmac_f64_e32 v[206:207], s[16:17], v[124:125]
	v_add_f64 v[110:111], v[110:111], v[118:119]
	v_add_f64 v[114:115], v[206:207], v[200:201]
	v_fma_f64 v[118:119], v[126:127], s[16:17], -v[208:209]
	v_fmac_f64_e32 v[214:215], s[12:13], v[142:143]
	v_add_f64 v[118:119], v[118:119], v[198:199]
	v_add_f64 v[114:115], v[214:215], v[114:115]
	v_fma_f64 v[198:199], v[144:145], s[12:13], -v[216:217]
	;; [unrolled: 4-line block ×5, first 2 shown]
	v_mul_f64 v[112:113], v[134:135], s[18:19]
	v_add_f64 v[106:107], v[106:107], v[114:115]
	v_fma_f64 v[114:115], v[124:125], s[24:25], -v[112:113]
	v_add_f64 v[114:115], v[114:115], v[192:193]
	v_mul_f64 v[192:193], v[132:133], s[18:19]
	v_fma_f64 v[116:117], s[24:25], v[126:127], v[192:193]
	v_add_f64 v[116:117], v[116:117], v[190:191]
	v_mul_f64 v[190:191], v[152:153], s[34:35]
	v_fma_f64 v[118:119], v[142:143], s[36:37], -v[190:191]
	v_mul_f64 v[198:199], v[150:151], s[34:35]
	v_add_f64 v[114:115], v[118:119], v[114:115]
	v_fma_f64 v[118:119], s[36:37], v[144:145], v[198:199]
	v_mul_f64 v[200:201], v[172:173], s[38:39]
	v_add_f64 v[116:117], v[118:119], v[116:117]
	v_fma_f64 v[118:119], v[158:159], s[28:29], -v[200:201]
	v_mul_f64 v[206:207], v[170:171], s[38:39]
	v_add_f64 v[114:115], v[118:119], v[114:115]
	v_fma_f64 v[118:119], s[28:29], v[160:161], v[206:207]
	v_mul_f64 v[208:209], v[188:189], s[30:31]
	v_fmac_f64_e32 v[112:113], s[24:25], v[124:125]
	v_add_f64 v[116:117], v[118:119], v[116:117]
	v_fma_f64 v[118:119], v[178:179], s[12:13], -v[208:209]
	v_mul_f64 v[214:215], v[186:187], s[30:31]
	v_add_f64 v[112:113], v[112:113], v[184:185]
	v_fma_f64 v[184:185], v[126:127], s[24:25], -v[192:193]
	v_add_f64 v[114:115], v[118:119], v[114:115]
	v_fma_f64 v[118:119], s[12:13], v[180:181], v[214:215]
	v_mul_f64 v[216:217], v[204:205], s[42:43]
	v_add_f64 v[182:183], v[184:185], v[182:183]
	v_fma_f64 v[184:185], v[144:145], s[36:37], -v[198:199]
	v_add_f64 v[118:119], v[118:119], v[116:117]
	v_fma_f64 v[116:117], v[196:197], s[22:23], -v[216:217]
	;; [unrolled: 2-line block ×3, first 2 shown]
	v_add_f64 v[116:117], v[116:117], v[114:115]
	v_mul_f64 v[114:115], v[202:203], s[42:43]
	v_add_f64 v[182:183], v[184:185], v[182:183]
	v_fma_f64 v[184:185], v[180:181], s[12:13], -v[214:215]
	v_fma_f64 v[218:219], s[22:23], v[194:195], v[114:115]
	v_add_f64 v[182:183], v[184:185], v[182:183]
	v_fma_f64 v[114:115], v[194:195], s[22:23], -v[114:115]
	v_add_f64 v[114:115], v[114:115], v[182:183]
	v_mul_f64 v[182:183], v[134:135], s[34:35]
	v_fma_f64 v[184:185], v[124:125], s[36:37], -v[182:183]
	v_fmac_f64_e32 v[190:191], s[36:37], v[142:143]
	v_add_f64 v[176:177], v[184:185], v[176:177]
	v_mul_f64 v[184:185], v[132:133], s[34:35]
	v_add_f64 v[112:113], v[190:191], v[112:113]
	v_fma_f64 v[190:191], s[36:37], v[126:127], v[184:185]
	v_add_f64 v[174:175], v[190:191], v[174:175]
	v_mul_f64 v[190:191], v[152:153], s[40:41]
	v_fma_f64 v[192:193], v[142:143], s[24:25], -v[190:191]
	v_add_f64 v[176:177], v[192:193], v[176:177]
	v_mul_f64 v[192:193], v[150:151], s[40:41]
	v_fma_f64 v[198:199], s[24:25], v[144:145], v[192:193]
	v_fmac_f64_e32 v[200:201], s[28:29], v[158:159]
	v_add_f64 v[174:175], v[198:199], v[174:175]
	v_mul_f64 v[198:199], v[172:173], s[42:43]
	v_add_f64 v[112:113], v[200:201], v[112:113]
	v_fma_f64 v[200:201], v[158:159], s[22:23], -v[198:199]
	v_add_f64 v[176:177], v[200:201], v[176:177]
	v_mul_f64 v[200:201], v[170:171], s[42:43]
	v_fma_f64 v[206:207], s[22:23], v[160:161], v[200:201]
	v_fmac_f64_e32 v[208:209], s[12:13], v[178:179]
	v_add_f64 v[174:175], v[206:207], v[174:175]
	v_mul_f64 v[206:207], v[188:189], s[14:15]
	v_fmac_f64_e32 v[182:183], s[36:37], v[124:125]
	v_add_f64 v[112:113], v[208:209], v[112:113]
	v_fma_f64 v[208:209], v[178:179], s[16:17], -v[206:207]
	v_add_f64 v[168:169], v[182:183], v[168:169]
	v_fma_f64 v[182:183], v[126:127], s[36:37], -v[184:185]
	v_fmac_f64_e32 v[190:191], s[24:25], v[142:143]
	v_fmac_f64_e32 v[216:217], s[22:23], v[196:197]
	v_add_f64 v[176:177], v[208:209], v[176:177]
	v_mul_f64 v[208:209], v[186:187], s[14:15]
	v_add_f64 v[166:167], v[182:183], v[166:167]
	v_add_f64 v[168:169], v[190:191], v[168:169]
	v_fma_f64 v[182:183], v[144:145], s[24:25], -v[192:193]
	v_fmac_f64_e32 v[198:199], s[22:23], v[158:159]
	v_add_f64 v[112:113], v[216:217], v[112:113]
	v_fma_f64 v[214:215], s[16:17], v[180:181], v[208:209]
	v_mul_f64 v[216:217], v[204:205], s[26:27]
	v_add_f64 v[166:167], v[182:183], v[166:167]
	v_add_f64 v[168:169], v[198:199], v[168:169]
	v_fma_f64 v[182:183], v[160:161], s[22:23], -v[200:201]
	v_fmac_f64_e32 v[206:207], s[16:17], v[178:179]
	v_add_f64 v[118:119], v[218:219], v[118:119]
	v_add_f64 v[214:215], v[214:215], v[174:175]
	v_fma_f64 v[174:175], v[196:197], s[28:29], -v[216:217]
	v_mul_f64 v[218:219], v[202:203], s[26:27]
	v_add_f64 v[166:167], v[182:183], v[166:167]
	v_add_f64 v[168:169], v[206:207], v[168:169]
	v_fma_f64 v[182:183], v[180:181], s[16:17], -v[208:209]
	v_fmac_f64_e32 v[216:217], s[28:29], v[196:197]
	v_add_f64 v[182:183], v[182:183], v[166:167]
	v_add_f64 v[166:167], v[216:217], v[168:169]
	v_fma_f64 v[168:169], v[194:195], s[28:29], -v[218:219]
	v_add_f64 v[168:169], v[168:169], v[182:183]
	v_mul_f64 v[182:183], v[134:135], s[38:39]
	v_fma_f64 v[184:185], v[124:125], s[28:29], -v[182:183]
	v_add_f64 v[164:165], v[184:185], v[164:165]
	v_mul_f64 v[184:185], v[132:133], s[38:39]
	v_fma_f64 v[190:191], s[28:29], v[126:127], v[184:185]
	v_add_f64 v[162:163], v[190:191], v[162:163]
	v_mul_f64 v[190:191], v[152:153], s[42:43]
	v_fma_f64 v[192:193], v[142:143], s[22:23], -v[190:191]
	v_add_f64 v[164:165], v[192:193], v[164:165]
	v_mul_f64 v[192:193], v[150:151], s[42:43]
	v_fma_f64 v[198:199], s[22:23], v[144:145], v[192:193]
	;; [unrolled: 6-line block ×3, first 2 shown]
	v_add_f64 v[162:163], v[206:207], v[162:163]
	v_mul_f64 v[206:207], v[188:189], s[46:47]
	v_fmac_f64_e32 v[182:183], s[28:29], v[124:125]
	v_fma_f64 v[208:209], v[178:179], s[36:37], -v[206:207]
	v_add_f64 v[156:157], v[182:183], v[156:157]
	v_fma_f64 v[182:183], v[126:127], s[28:29], -v[184:185]
	v_fmac_f64_e32 v[190:191], s[22:23], v[142:143]
	v_add_f64 v[174:175], v[174:175], v[176:177]
	v_fma_f64 v[176:177], s[28:29], v[194:195], v[218:219]
	v_add_f64 v[164:165], v[208:209], v[164:165]
	v_mul_f64 v[208:209], v[186:187], s[46:47]
	v_add_f64 v[154:155], v[182:183], v[154:155]
	v_add_f64 v[156:157], v[190:191], v[156:157]
	v_fma_f64 v[182:183], v[144:145], s[22:23], -v[192:193]
	v_fmac_f64_e32 v[198:199], s[12:13], v[158:159]
	v_add_f64 v[176:177], v[176:177], v[214:215]
	v_fma_f64 v[214:215], s[36:37], v[180:181], v[208:209]
	v_mul_f64 v[216:217], v[204:205], s[44:45]
	v_add_f64 v[154:155], v[182:183], v[154:155]
	v_add_f64 v[156:157], v[198:199], v[156:157]
	v_fma_f64 v[182:183], v[160:161], s[12:13], -v[200:201]
	v_fmac_f64_e32 v[206:207], s[36:37], v[178:179]
	v_add_f64 v[214:215], v[214:215], v[162:163]
	v_fma_f64 v[162:163], v[196:197], s[16:17], -v[216:217]
	v_mul_f64 v[218:219], v[202:203], s[44:45]
	v_add_f64 v[154:155], v[182:183], v[154:155]
	v_add_f64 v[156:157], v[206:207], v[156:157]
	v_fma_f64 v[182:183], v[180:181], s[36:37], -v[208:209]
	v_fmac_f64_e32 v[216:217], s[16:17], v[196:197]
	v_add_f64 v[182:183], v[182:183], v[154:155]
	v_add_f64 v[154:155], v[216:217], v[156:157]
	v_fma_f64 v[156:157], v[194:195], s[16:17], -v[218:219]
	v_add_f64 v[156:157], v[156:157], v[182:183]
	v_mul_f64 v[182:183], v[134:135], s[30:31]
	v_fma_f64 v[184:185], v[124:125], s[12:13], -v[182:183]
	v_add_f64 v[148:149], v[184:185], v[148:149]
	v_mul_f64 v[184:185], v[132:133], s[30:31]
	v_fma_f64 v[190:191], s[12:13], v[126:127], v[184:185]
	v_add_f64 v[146:147], v[190:191], v[146:147]
	v_mul_f64 v[190:191], v[152:153], s[14:15]
	v_fma_f64 v[192:193], v[142:143], s[16:17], -v[190:191]
	v_add_f64 v[148:149], v[192:193], v[148:149]
	v_mul_f64 v[192:193], v[150:151], s[14:15]
	v_fma_f64 v[198:199], s[16:17], v[144:145], v[192:193]
	;; [unrolled: 6-line block ×3, first 2 shown]
	v_add_f64 v[146:147], v[206:207], v[146:147]
	v_mul_f64 v[206:207], v[188:189], s[42:43]
	v_fmac_f64_e32 v[182:183], s[12:13], v[124:125]
	v_fma_f64 v[208:209], v[178:179], s[22:23], -v[206:207]
	v_add_f64 v[140:141], v[182:183], v[140:141]
	v_fma_f64 v[182:183], v[126:127], s[12:13], -v[184:185]
	v_fmac_f64_e32 v[190:191], s[16:17], v[142:143]
	v_add_f64 v[162:163], v[162:163], v[164:165]
	v_fma_f64 v[164:165], s[16:17], v[194:195], v[218:219]
	v_add_f64 v[148:149], v[208:209], v[148:149]
	v_mul_f64 v[208:209], v[186:187], s[42:43]
	v_add_f64 v[138:139], v[182:183], v[138:139]
	v_add_f64 v[140:141], v[190:191], v[140:141]
	v_fma_f64 v[182:183], v[144:145], s[16:17], -v[192:193]
	v_fmac_f64_e32 v[198:199], s[36:37], v[158:159]
	v_add_f64 v[164:165], v[164:165], v[214:215]
	v_fma_f64 v[214:215], s[22:23], v[180:181], v[208:209]
	v_mul_f64 v[216:217], v[204:205], s[18:19]
	v_add_f64 v[138:139], v[182:183], v[138:139]
	v_add_f64 v[140:141], v[198:199], v[140:141]
	v_fma_f64 v[182:183], v[160:161], s[36:37], -v[200:201]
	v_fmac_f64_e32 v[206:207], s[22:23], v[178:179]
	v_add_f64 v[214:215], v[214:215], v[146:147]
	v_fma_f64 v[146:147], v[196:197], s[24:25], -v[216:217]
	v_mul_f64 v[218:219], v[202:203], s[18:19]
	v_add_f64 v[138:139], v[182:183], v[138:139]
	v_add_f64 v[140:141], v[206:207], v[140:141]
	v_fma_f64 v[182:183], v[180:181], s[22:23], -v[208:209]
	v_fmac_f64_e32 v[216:217], s[24:25], v[196:197]
	v_add_f64 v[182:183], v[182:183], v[138:139]
	v_add_f64 v[138:139], v[216:217], v[140:141]
	v_fma_f64 v[140:141], v[194:195], s[24:25], -v[218:219]
	v_mul_f64 v[134:135], v[134:135], s[42:43]
	v_add_f64 v[140:141], v[140:141], v[182:183]
	v_fma_f64 v[182:183], v[124:125], s[22:23], -v[134:135]
	v_mul_f64 v[132:133], v[132:133], s[42:43]
	v_add_f64 v[130:131], v[182:183], v[130:131]
	v_fma_f64 v[182:183], s[22:23], v[126:127], v[132:133]
	v_mul_f64 v[152:153], v[152:153], s[26:27]
	v_add_f64 v[128:129], v[182:183], v[128:129]
	v_fma_f64 v[182:183], v[142:143], s[28:29], -v[152:153]
	v_mul_f64 v[150:151], v[150:151], s[26:27]
	v_add_f64 v[130:131], v[182:183], v[130:131]
	v_fma_f64 v[182:183], s[28:29], v[144:145], v[150:151]
	;; [unrolled: 6-line block ×3, first 2 shown]
	v_add_f64 v[128:129], v[182:183], v[128:129]
	v_mul_f64 v[182:183], v[188:189], s[18:19]
	v_fma_f64 v[184:185], v[178:179], s[24:25], -v[182:183]
	v_fmac_f64_e32 v[134:135], s[22:23], v[124:125]
	v_fma_f64 v[124:125], v[126:127], s[22:23], -v[132:133]
	v_add_f64 v[130:131], v[184:185], v[130:131]
	v_mul_f64 v[184:185], v[186:187], s[18:19]
	v_add_f64 v[122:123], v[134:135], v[122:123]
	v_add_f64 v[120:121], v[124:125], v[120:121]
	v_fmac_f64_e32 v[152:153], s[28:29], v[142:143]
	v_fma_f64 v[124:125], v[144:145], s[28:29], -v[150:151]
	v_fma_f64 v[186:187], s[24:25], v[180:181], v[184:185]
	v_mul_f64 v[188:189], v[204:205], s[30:31]
	v_add_f64 v[122:123], v[152:153], v[122:123]
	v_add_f64 v[120:121], v[124:125], v[120:121]
	v_fmac_f64_e32 v[172:173], s[16:17], v[158:159]
	v_fma_f64 v[124:125], v[160:161], s[16:17], -v[170:171]
	v_add_f64 v[186:187], v[186:187], v[128:129]
	v_fma_f64 v[128:129], v[196:197], s[12:13], -v[188:189]
	v_mul_f64 v[190:191], v[202:203], s[30:31]
	v_add_f64 v[122:123], v[172:173], v[122:123]
	v_add_f64 v[120:121], v[124:125], v[120:121]
	v_fmac_f64_e32 v[182:183], s[24:25], v[178:179]
	v_fma_f64 v[124:125], v[180:181], s[24:25], -v[184:185]
	v_add_f64 v[146:147], v[146:147], v[148:149]
	v_fma_f64 v[148:149], s[24:25], v[194:195], v[218:219]
	v_add_f64 v[128:129], v[128:129], v[130:131]
	v_fma_f64 v[130:131], s[12:13], v[194:195], v[190:191]
	v_add_f64 v[122:123], v[182:183], v[122:123]
	v_add_f64 v[124:125], v[124:125], v[120:121]
	v_fmac_f64_e32 v[188:189], s[12:13], v[196:197]
	v_fma_f64 v[126:127], v[194:195], s[12:13], -v[190:191]
	v_add_f64 v[148:149], v[148:149], v[214:215]
	v_add_f64 v[130:131], v[130:131], v[186:187]
	;; [unrolled: 1-line block ×4, first 2 shown]
	ds_write_b128 v211, v[100:103]
	ds_write_b128 v211, v[108:111] offset:208
	ds_write_b128 v211, v[116:119] offset:416
	;; [unrolled: 1-line block ×12, first 2 shown]
	s_waitcnt lgkmcnt(0)
	s_barrier
	global_load_dwordx4 v[100:103], v212, s[8:9] offset:2704
	s_add_u32 s8, s8, 0xa90
	s_addc_u32 s9, s9, 0
	global_load_dwordx4 v[104:107], v212, s[8:9] offset:208
	global_load_dwordx4 v[108:111], v212, s[8:9] offset:416
	;; [unrolled: 1-line block ×12, first 2 shown]
	ds_read_b128 v[154:157], v211
	ds_read_b128 v[158:161], v211 offset:208
	s_waitcnt vmcnt(12) lgkmcnt(1)
	v_mul_f64 v[162:163], v[156:157], v[102:103]
	v_mul_f64 v[164:165], v[154:155], v[102:103]
	v_fma_f64 v[162:163], v[154:155], v[100:101], -v[162:163]
	v_fmac_f64_e32 v[164:165], v[156:157], v[100:101]
	s_waitcnt vmcnt(11) lgkmcnt(0)
	v_mul_f64 v[154:155], v[160:161], v[106:107]
	ds_read_b128 v[100:103], v211 offset:416
	v_mul_f64 v[156:157], v[158:159], v[106:107]
	v_fma_f64 v[154:155], v[158:159], v[104:105], -v[154:155]
	v_fmac_f64_e32 v[156:157], v[160:161], v[104:105]
	ds_read_b128 v[104:107], v211 offset:624
	s_waitcnt vmcnt(10) lgkmcnt(1)
	v_mul_f64 v[158:159], v[102:103], v[110:111]
	v_mul_f64 v[160:161], v[100:101], v[110:111]
	v_fma_f64 v[158:159], v[100:101], v[108:109], -v[158:159]
	v_fmac_f64_e32 v[160:161], v[102:103], v[108:109]
	s_waitcnt vmcnt(9) lgkmcnt(0)
	v_mul_f64 v[100:101], v[106:107], v[114:115]
	v_mul_f64 v[102:103], v[104:105], v[114:115]
	v_fma_f64 v[100:101], v[104:105], v[112:113], -v[100:101]
	v_fmac_f64_e32 v[102:103], v[106:107], v[112:113]
	ds_read_b128 v[104:107], v211 offset:832
	ds_write_b128 v211, v[162:165]
	ds_write_b128 v211, v[154:157] offset:208
	ds_write_b128 v211, v[158:161] offset:416
	;; [unrolled: 1-line block ×3, first 2 shown]
	ds_read_b128 v[100:103], v211 offset:1040
	s_waitcnt vmcnt(8) lgkmcnt(5)
	v_mul_f64 v[108:109], v[106:107], v[118:119]
	v_mul_f64 v[110:111], v[104:105], v[118:119]
	v_fma_f64 v[108:109], v[104:105], v[116:117], -v[108:109]
	v_fmac_f64_e32 v[110:111], v[106:107], v[116:117]
	ds_write_b128 v211, v[108:111] offset:832
	ds_read_b128 v[108:111], v211 offset:1248
	s_waitcnt vmcnt(7) lgkmcnt(2)
	v_mul_f64 v[104:105], v[102:103], v[122:123]
	v_mul_f64 v[106:107], v[100:101], v[122:123]
	v_fma_f64 v[104:105], v[100:101], v[120:121], -v[104:105]
	v_fmac_f64_e32 v[106:107], v[102:103], v[120:121]
	ds_read_b128 v[100:103], v211 offset:1456
	ds_write_b128 v211, v[104:107] offset:1040
	s_waitcnt vmcnt(6) lgkmcnt(2)
	v_mul_f64 v[104:105], v[110:111], v[126:127]
	v_mul_f64 v[106:107], v[108:109], v[126:127]
	v_fma_f64 v[104:105], v[108:109], v[124:125], -v[104:105]
	v_fmac_f64_e32 v[106:107], v[110:111], v[124:125]
	ds_read_b128 v[108:111], v211 offset:1664
	ds_write_b128 v211, v[104:107] offset:1248
	;; [unrolled: 7-line block ×4, first 2 shown]
	s_waitcnt vmcnt(3) lgkmcnt(3)
	v_mul_f64 v[104:105], v[102:103], v[140:141]
	v_mul_f64 v[106:107], v[100:101], v[140:141]
	v_fma_f64 v[104:105], v[100:101], v[138:139], -v[104:105]
	v_fmac_f64_e32 v[106:107], v[102:103], v[138:139]
	ds_write_b128 v211, v[104:107] offset:1872
	s_waitcnt vmcnt(2) lgkmcnt(2)
	v_mul_f64 v[104:105], v[110:111], v[144:145]
	v_mul_f64 v[106:107], v[108:109], v[144:145]
	ds_read_b128 v[100:103], v211 offset:2288
	v_fma_f64 v[104:105], v[108:109], v[142:143], -v[104:105]
	v_fmac_f64_e32 v[106:107], v[110:111], v[142:143]
	ds_write_b128 v211, v[104:107] offset:2080
	ds_read_b128 v[104:107], v211 offset:2496
	s_waitcnt vmcnt(1) lgkmcnt(2)
	v_mul_f64 v[108:109], v[102:103], v[148:149]
	v_mul_f64 v[110:111], v[100:101], v[148:149]
	v_fma_f64 v[108:109], v[100:101], v[146:147], -v[108:109]
	v_fmac_f64_e32 v[110:111], v[102:103], v[146:147]
	s_waitcnt vmcnt(0) lgkmcnt(0)
	v_mul_f64 v[100:101], v[106:107], v[152:153]
	v_mul_f64 v[102:103], v[104:105], v[152:153]
	v_fma_f64 v[100:101], v[104:105], v[150:151], -v[100:101]
	v_fmac_f64_e32 v[102:103], v[106:107], v[150:151]
	ds_write_b128 v211, v[108:111] offset:2288
	ds_write_b128 v211, v[100:103] offset:2496
	s_waitcnt lgkmcnt(0)
	s_barrier
	ds_read_b128 v[104:107], v211
	ds_read_b128 v[138:141], v211 offset:208
	ds_read_b128 v[144:147], v211 offset:416
	;; [unrolled: 1-line block ×9, first 2 shown]
	s_waitcnt lgkmcnt(8)
	v_add_f64 v[100:101], v[104:105], v[138:139]
	v_add_f64 v[102:103], v[106:107], v[140:141]
	s_waitcnt lgkmcnt(7)
	v_add_f64 v[100:101], v[100:101], v[144:145]
	v_add_f64 v[102:103], v[102:103], v[146:147]
	;; [unrolled: 3-line block ×5, first 2 shown]
	ds_read_b128 v[150:153], v211 offset:2080
	ds_read_b128 v[154:157], v211 offset:2288
	s_waitcnt lgkmcnt(5)
	v_add_f64 v[100:101], v[100:101], v[108:109]
	v_add_f64 v[102:103], v[102:103], v[110:111]
	ds_read_b128 v[158:161], v211 offset:2496
	s_waitcnt lgkmcnt(5)
	v_add_f64 v[100:101], v[100:101], v[112:113]
	v_add_f64 v[102:103], v[102:103], v[114:115]
	s_waitcnt lgkmcnt(4)
	v_add_f64 v[100:101], v[100:101], v[120:121]
	v_add_f64 v[102:103], v[102:103], v[122:123]
	;; [unrolled: 3-line block ×5, first 2 shown]
	s_waitcnt lgkmcnt(0)
	v_add_f64 v[172:173], v[140:141], -v[160:161]
	v_add_f64 v[100:101], v[100:101], v[158:159]
	v_add_f64 v[102:103], v[102:103], v[160:161]
	;; [unrolled: 1-line block ×4, first 2 shown]
	v_add_f64 v[162:163], v[138:139], -v[158:159]
	v_add_f64 v[138:139], v[144:145], v[154:155]
	v_add_f64 v[142:143], v[146:147], v[156:157]
	v_add_f64 v[140:141], v[144:145], -v[154:155]
	v_add_f64 v[144:145], v[146:147], -v[156:157]
	v_add_f64 v[146:147], v[132:133], v[150:151]
	v_add_f64 v[148:149], v[134:135], v[152:153]
	v_add_f64 v[132:133], v[132:133], -v[150:151]
	;; [unrolled: 4-line block ×3, first 2 shown]
	v_add_f64 v[126:127], v[126:127], -v[130:131]
	v_add_f64 v[128:129], v[116:117], v[120:121]
	v_add_f64 v[130:131], v[116:117], -v[120:121]
	v_add_f64 v[160:161], v[108:109], v[112:113]
	v_add_f64 v[158:159], v[108:109], -v[112:113]
	v_mul_f64 v[108:109], v[172:173], s[20:21]
	v_mul_f64 v[112:113], v[172:173], s[14:15]
	;; [unrolled: 1-line block ×6, first 2 shown]
	v_add_f64 v[154:155], v[118:119], v[122:123]
	v_add_f64 v[156:157], v[118:119], -v[122:123]
	v_add_f64 v[164:165], v[110:111], v[114:115]
	v_add_f64 v[168:169], v[110:111], -v[114:115]
	v_fma_f64 v[110:111], s[22:23], v[170:171], v[108:109]
	v_fma_f64 v[108:109], v[170:171], s[22:23], -v[108:109]
	v_fma_f64 v[114:115], s[16:17], v[170:171], v[112:113]
	v_fma_f64 v[112:113], v[170:171], s[16:17], -v[112:113]
	;; [unrolled: 2-line block ×6, first 2 shown]
	v_mul_f64 v[170:171], v[166:167], s[22:23]
	v_mul_f64 v[198:199], v[166:167], s[36:37]
	v_fma_f64 v[172:173], s[42:43], v[162:163], v[170:171]
	v_fmac_f64_e32 v[170:171], s[20:21], v[162:163]
	v_mul_f64 v[182:183], v[166:167], s[16:17]
	v_mul_f64 v[186:187], v[166:167], s[12:13]
	;; [unrolled: 1-line block ×4, first 2 shown]
	v_fma_f64 v[166:167], s[46:47], v[162:163], v[198:199]
	v_fma_f64 v[184:185], s[44:45], v[162:163], v[182:183]
	v_fmac_f64_e32 v[182:183], s[14:15], v[162:163]
	v_fma_f64 v[188:189], s[30:31], v[162:163], v[186:187]
	v_fmac_f64_e32 v[186:187], s[2:3], v[162:163]
	;; [unrolled: 2-line block ×4, first 2 shown]
	v_fmac_f64_e32 v[198:199], s[34:35], v[162:163]
	v_add_f64 v[110:111], v[104:105], v[110:111]
	v_add_f64 v[200:201], v[106:107], v[172:173]
	;; [unrolled: 1-line block ×15, first 2 shown]
	v_mul_f64 v[104:105], v[144:145], s[14:15]
	v_add_f64 v[184:185], v[106:107], v[184:185]
	v_add_f64 v[182:183], v[106:107], v[182:183]
	v_add_f64 v[188:189], v[106:107], v[188:189]
	v_add_f64 v[186:187], v[106:107], v[186:187]
	v_add_f64 v[192:193], v[106:107], v[192:193]
	v_add_f64 v[190:191], v[106:107], v[190:191]
	v_add_f64 v[196:197], v[106:107], v[196:197]
	v_add_f64 v[174:175], v[106:107], v[194:195]
	v_add_f64 v[162:163], v[106:107], v[198:199]
	v_fma_f64 v[106:107], s[16:17], v[138:139], v[104:105]
	v_mul_f64 v[116:117], v[142:143], s[16:17]
	v_mul_f64 v[118:119], v[134:135], s[2:3]
	v_add_f64 v[106:107], v[106:107], v[110:111]
	v_fma_f64 v[108:109], s[44:45], v[140:141], v[116:117]
	v_fma_f64 v[110:111], s[12:13], v[146:147], v[118:119]
	v_mul_f64 v[120:121], v[148:149], s[12:13]
	v_add_f64 v[108:109], v[108:109], v[200:201]
	v_add_f64 v[106:107], v[110:111], v[106:107]
	v_fma_f64 v[110:111], s[30:31], v[132:133], v[120:121]
	v_mul_f64 v[122:123], v[126:127], s[18:19]
	v_add_f64 v[108:109], v[110:111], v[108:109]
	v_fma_f64 v[110:111], s[24:25], v[150:151], v[122:123]
	v_mul_f64 v[178:179], v[152:153], s[24:25]
	;; [unrolled: 3-line block ×4, first 2 shown]
	v_fmac_f64_e32 v[116:117], s[14:15], v[140:141]
	v_add_f64 v[106:107], v[110:111], v[106:107]
	v_fma_f64 v[110:111], s[38:39], v[130:131], v[194:195]
	v_mul_f64 v[198:199], v[168:169], s[34:35]
	v_fma_f64 v[104:105], v[138:139], s[16:17], -v[104:105]
	v_add_f64 v[116:117], v[116:117], v[204:205]
	v_fmac_f64_e32 v[120:121], s[2:3], v[132:133]
	v_add_f64 v[110:111], v[110:111], v[108:109]
	v_fma_f64 v[108:109], s[36:37], v[160:161], v[198:199]
	v_add_f64 v[104:105], v[104:105], v[202:203]
	v_fma_f64 v[118:119], v[146:147], s[12:13], -v[118:119]
	v_add_f64 v[116:117], v[120:121], v[116:117]
	v_fmac_f64_e32 v[178:179], s[18:19], v[124:125]
	v_add_f64 v[108:109], v[108:109], v[106:107]
	v_mul_f64 v[106:107], v[164:165], s[36:37]
	v_add_f64 v[104:105], v[118:119], v[104:105]
	v_fma_f64 v[118:119], v[150:151], s[24:25], -v[122:123]
	v_add_f64 v[116:117], v[178:179], v[116:117]
	v_fmac_f64_e32 v[194:195], s[26:27], v[130:131]
	v_fma_f64 v[200:201], s[46:47], v[158:159], v[106:107]
	v_add_f64 v[104:105], v[118:119], v[104:105]
	v_fma_f64 v[118:119], v[128:129], s[28:29], -v[180:181]
	v_add_f64 v[116:117], v[194:195], v[116:117]
	v_fmac_f64_e32 v[106:107], s[34:35], v[158:159]
	v_mul_f64 v[120:121], v[144:145], s[18:19]
	v_add_f64 v[104:105], v[118:119], v[104:105]
	v_fma_f64 v[118:119], v[160:161], s[36:37], -v[198:199]
	v_add_f64 v[106:107], v[106:107], v[116:117]
	v_fma_f64 v[116:117], s[24:25], v[138:139], v[120:121]
	v_mul_f64 v[122:123], v[142:143], s[24:25]
	v_mul_f64 v[178:179], v[134:135], s[34:35]
	v_add_f64 v[104:105], v[118:119], v[104:105]
	v_add_f64 v[114:115], v[116:117], v[114:115]
	v_fma_f64 v[116:117], s[40:41], v[140:141], v[122:123]
	v_fma_f64 v[118:119], s[36:37], v[146:147], v[178:179]
	v_mul_f64 v[180:181], v[148:149], s[36:37]
	v_add_f64 v[116:117], v[116:117], v[184:185]
	v_add_f64 v[114:115], v[118:119], v[114:115]
	v_fma_f64 v[118:119], s[46:47], v[132:133], v[180:181]
	v_mul_f64 v[184:185], v[126:127], s[38:39]
	v_add_f64 v[116:117], v[118:119], v[116:117]
	v_fma_f64 v[118:119], s[28:29], v[150:151], v[184:185]
	v_mul_f64 v[194:195], v[152:153], s[28:29]
	;; [unrolled: 3-line block ×3, first 2 shown]
	v_add_f64 v[110:111], v[200:201], v[110:111]
	v_add_f64 v[116:117], v[118:119], v[116:117]
	v_fma_f64 v[118:119], s[12:13], v[128:129], v[198:199]
	v_mul_f64 v[200:201], v[154:155], s[12:13]
	v_fma_f64 v[120:121], v[138:139], s[24:25], -v[120:121]
	v_fmac_f64_e32 v[122:123], s[18:19], v[140:141]
	v_add_f64 v[114:115], v[118:119], v[114:115]
	v_fma_f64 v[118:119], s[2:3], v[130:131], v[200:201]
	v_mul_f64 v[202:203], v[168:169], s[42:43]
	v_add_f64 v[112:113], v[120:121], v[112:113]
	v_add_f64 v[120:121], v[122:123], v[182:183]
	v_fmac_f64_e32 v[180:181], s[34:35], v[132:133]
	v_add_f64 v[118:119], v[118:119], v[116:117]
	v_fma_f64 v[116:117], s[22:23], v[160:161], v[202:203]
	v_fma_f64 v[122:123], v[146:147], s[36:37], -v[178:179]
	v_add_f64 v[120:121], v[180:181], v[120:121]
	v_fmac_f64_e32 v[194:195], s[38:39], v[124:125]
	v_add_f64 v[116:117], v[116:117], v[114:115]
	v_mul_f64 v[114:115], v[164:165], s[22:23]
	v_add_f64 v[112:113], v[122:123], v[112:113]
	v_fma_f64 v[122:123], v[150:151], s[28:29], -v[184:185]
	v_add_f64 v[120:121], v[194:195], v[120:121]
	v_fmac_f64_e32 v[200:201], s[30:31], v[130:131]
	v_fma_f64 v[204:205], s[20:21], v[158:159], v[114:115]
	v_add_f64 v[112:113], v[122:123], v[112:113]
	v_fma_f64 v[122:123], v[128:129], s[12:13], -v[198:199]
	v_add_f64 v[120:121], v[200:201], v[120:121]
	v_fmac_f64_e32 v[114:115], s[42:43], v[158:159]
	v_add_f64 v[112:113], v[122:123], v[112:113]
	v_fma_f64 v[122:123], v[160:161], s[22:23], -v[202:203]
	v_add_f64 v[114:115], v[114:115], v[120:121]
	v_mul_f64 v[120:121], v[144:145], s[34:35]
	v_mul_f64 v[182:183], v[142:143], s[36:37]
	v_add_f64 v[112:113], v[122:123], v[112:113]
	v_fma_f64 v[122:123], s[36:37], v[138:139], v[120:121]
	v_fma_f64 v[178:179], s[46:47], v[140:141], v[182:183]
	v_mul_f64 v[184:185], v[134:135], s[40:41]
	v_add_f64 v[122:123], v[122:123], v[206:207]
	v_add_f64 v[178:179], v[178:179], v[188:189]
	v_fma_f64 v[180:181], s[24:25], v[146:147], v[184:185]
	v_mul_f64 v[188:189], v[148:149], s[24:25]
	v_add_f64 v[122:123], v[180:181], v[122:123]
	v_fma_f64 v[180:181], s[18:19], v[132:133], v[188:189]
	v_mul_f64 v[194:195], v[126:127], s[42:43]
	;; [unrolled: 3-line block ×4, first 2 shown]
	v_fma_f64 v[120:121], v[138:139], s[36:37], -v[120:121]
	v_add_f64 v[178:179], v[180:181], v[178:179]
	v_fma_f64 v[180:181], s[16:17], v[128:129], v[200:201]
	v_mul_f64 v[202:203], v[154:155], s[16:17]
	v_add_f64 v[120:121], v[120:121], v[208:209]
	v_fmac_f64_e32 v[182:183], s[34:35], v[140:141]
	v_fma_f64 v[184:185], v[146:147], s[24:25], -v[184:185]
	v_add_f64 v[118:119], v[204:205], v[118:119]
	v_add_f64 v[122:123], v[180:181], v[122:123]
	v_fma_f64 v[180:181], s[44:45], v[130:131], v[202:203]
	v_mul_f64 v[204:205], v[168:169], s[26:27]
	v_add_f64 v[182:183], v[182:183], v[186:187]
	v_add_f64 v[120:121], v[184:185], v[120:121]
	v_fmac_f64_e32 v[188:189], s[40:41], v[132:133]
	v_fma_f64 v[184:185], v[150:151], s[22:23], -v[194:195]
	v_add_f64 v[180:181], v[180:181], v[178:179]
	v_fma_f64 v[178:179], s[28:29], v[160:161], v[204:205]
	v_add_f64 v[182:183], v[188:189], v[182:183]
	v_add_f64 v[120:121], v[184:185], v[120:121]
	v_fmac_f64_e32 v[198:199], s[42:43], v[124:125]
	v_fma_f64 v[184:185], v[128:129], s[16:17], -v[200:201]
	v_add_f64 v[178:179], v[178:179], v[122:123]
	v_mul_f64 v[122:123], v[164:165], s[28:29]
	v_add_f64 v[182:183], v[198:199], v[182:183]
	v_add_f64 v[120:121], v[184:185], v[120:121]
	v_fmac_f64_e32 v[202:203], s[14:15], v[130:131]
	v_fma_f64 v[184:185], v[160:161], s[28:29], -v[204:205]
	v_mul_f64 v[188:189], v[142:143], s[28:29]
	v_fma_f64 v[206:207], s[38:39], v[158:159], v[122:123]
	v_add_f64 v[182:183], v[202:203], v[182:183]
	v_add_f64 v[120:121], v[184:185], v[120:121]
	v_fmac_f64_e32 v[122:123], s[26:27], v[158:159]
	v_mul_f64 v[186:187], v[144:145], s[38:39]
	v_fma_f64 v[184:185], s[26:27], v[140:141], v[188:189]
	v_add_f64 v[122:123], v[122:123], v[182:183]
	v_fma_f64 v[182:183], s[28:29], v[138:139], v[186:187]
	v_add_f64 v[184:185], v[184:185], v[192:193]
	v_mul_f64 v[192:193], v[134:135], s[42:43]
	v_add_f64 v[182:183], v[182:183], v[214:215]
	v_fma_f64 v[194:195], s[22:23], v[146:147], v[192:193]
	v_add_f64 v[182:183], v[194:195], v[182:183]
	v_mul_f64 v[194:195], v[148:149], s[22:23]
	v_fma_f64 v[198:199], s[20:21], v[132:133], v[194:195]
	v_add_f64 v[184:185], v[198:199], v[184:185]
	v_mul_f64 v[198:199], v[126:127], s[2:3]
	;; [unrolled: 3-line block ×4, first 2 shown]
	v_fma_f64 v[204:205], s[36:37], v[128:129], v[202:203]
	v_fma_f64 v[186:187], v[138:139], s[28:29], -v[186:187]
	v_fmac_f64_e32 v[188:189], s[38:39], v[140:141]
	v_add_f64 v[182:183], v[204:205], v[182:183]
	v_mul_f64 v[204:205], v[154:155], s[36:37]
	v_add_f64 v[186:187], v[186:187], v[216:217]
	v_add_f64 v[188:189], v[188:189], v[190:191]
	v_fma_f64 v[190:191], v[146:147], s[22:23], -v[192:193]
	v_add_f64 v[180:181], v[206:207], v[180:181]
	v_fma_f64 v[206:207], s[34:35], v[130:131], v[204:205]
	v_add_f64 v[186:187], v[190:191], v[186:187]
	v_fma_f64 v[190:191], v[150:151], s[12:13], -v[198:199]
	v_add_f64 v[184:185], v[206:207], v[184:185]
	v_mul_f64 v[206:207], v[168:169], s[44:45]
	v_fmac_f64_e32 v[194:195], s[42:43], v[132:133]
	v_add_f64 v[186:187], v[190:191], v[186:187]
	v_fma_f64 v[190:191], v[128:129], s[36:37], -v[202:203]
	v_mul_f64 v[198:199], v[142:143], s[12:13]
	v_add_f64 v[188:189], v[194:195], v[188:189]
	v_add_f64 v[186:187], v[190:191], v[186:187]
	v_fma_f64 v[190:191], v[160:161], s[16:17], -v[206:207]
	v_mul_f64 v[194:195], v[144:145], s[30:31]
	v_fma_f64 v[192:193], s[2:3], v[140:141], v[198:199]
	v_fmac_f64_e32 v[200:201], s[2:3], v[124:125]
	v_add_f64 v[186:187], v[190:191], v[186:187]
	v_fma_f64 v[190:191], s[12:13], v[138:139], v[194:195]
	v_add_f64 v[192:193], v[192:193], v[196:197]
	v_mul_f64 v[196:197], v[134:135], s[14:15]
	v_add_f64 v[188:189], v[200:201], v[188:189]
	v_add_f64 v[190:191], v[190:191], v[218:219]
	v_fma_f64 v[200:201], s[16:17], v[146:147], v[196:197]
	v_add_f64 v[190:191], v[200:201], v[190:191]
	v_mul_f64 v[200:201], v[148:149], s[16:17]
	v_fma_f64 v[202:203], s[44:45], v[132:133], v[200:201]
	v_fmac_f64_e32 v[204:205], s[46:47], v[130:131]
	v_add_f64 v[192:193], v[202:203], v[192:193]
	v_mul_f64 v[202:203], v[126:127], s[46:47]
	v_add_f64 v[188:189], v[204:205], v[188:189]
	v_fma_f64 v[204:205], s[36:37], v[150:151], v[202:203]
	v_fma_f64 v[208:209], s[16:17], v[160:161], v[206:207]
	v_add_f64 v[190:191], v[204:205], v[190:191]
	v_mul_f64 v[204:205], v[152:153], s[36:37]
	v_add_f64 v[182:183], v[208:209], v[182:183]
	v_mul_f64 v[208:209], v[164:165], s[16:17]
	v_fma_f64 v[206:207], s[34:35], v[124:125], v[204:205]
	v_fma_f64 v[214:215], s[14:15], v[158:159], v[208:209]
	v_fmac_f64_e32 v[208:209], s[44:45], v[158:159]
	v_add_f64 v[192:193], v[206:207], v[192:193]
	v_mul_f64 v[206:207], v[156:157], s[42:43]
	v_add_f64 v[188:189], v[208:209], v[188:189]
	v_fma_f64 v[208:209], s[22:23], v[128:129], v[206:207]
	v_add_f64 v[190:191], v[208:209], v[190:191]
	v_mul_f64 v[208:209], v[154:155], s[22:23]
	v_add_f64 v[184:185], v[214:215], v[184:185]
	v_fma_f64 v[214:215], s[20:21], v[130:131], v[208:209]
	v_fma_f64 v[194:195], v[138:139], s[12:13], -v[194:195]
	v_fmac_f64_e32 v[198:199], s[30:31], v[140:141]
	v_add_f64 v[192:193], v[214:215], v[192:193]
	v_mul_f64 v[214:215], v[168:169], s[18:19]
	v_add_f64 v[176:177], v[194:195], v[176:177]
	v_add_f64 v[174:175], v[198:199], v[174:175]
	v_fma_f64 v[194:195], v[146:147], s[16:17], -v[196:197]
	v_fmac_f64_e32 v[200:201], s[14:15], v[132:133]
	v_fma_f64 v[216:217], s[24:25], v[160:161], v[214:215]
	v_add_f64 v[176:177], v[194:195], v[176:177]
	v_add_f64 v[174:175], v[200:201], v[174:175]
	v_fma_f64 v[194:195], v[150:151], s[36:37], -v[202:203]
	v_fmac_f64_e32 v[204:205], s[46:47], v[124:125]
	v_add_f64 v[190:191], v[216:217], v[190:191]
	v_mul_f64 v[216:217], v[164:165], s[24:25]
	v_add_f64 v[176:177], v[194:195], v[176:177]
	v_add_f64 v[174:175], v[204:205], v[174:175]
	v_fma_f64 v[194:195], v[128:129], s[22:23], -v[206:207]
	v_fmac_f64_e32 v[208:209], s[42:43], v[130:131]
	v_fma_f64 v[218:219], s[40:41], v[158:159], v[216:217]
	v_add_f64 v[176:177], v[194:195], v[176:177]
	v_add_f64 v[194:195], v[208:209], v[174:175]
	v_fma_f64 v[174:175], v[160:161], s[24:25], -v[214:215]
	v_fmac_f64_e32 v[216:217], s[18:19], v[158:159]
	v_add_f64 v[174:175], v[174:175], v[176:177]
	v_add_f64 v[176:177], v[216:217], v[194:195]
	v_mul_f64 v[194:195], v[144:145], s[42:43]
	v_fma_f64 v[144:145], s[22:23], v[138:139], v[194:195]
	v_add_f64 v[144:145], v[144:145], v[172:173]
	v_mul_f64 v[172:173], v[142:143], s[22:23]
	v_fma_f64 v[142:143], s[20:21], v[140:141], v[172:173]
	v_mul_f64 v[134:135], v[134:135], s[26:27]
	v_add_f64 v[142:143], v[142:143], v[170:171]
	v_fma_f64 v[170:171], s[28:29], v[146:147], v[134:135]
	v_mul_f64 v[148:149], v[148:149], s[28:29]
	v_add_f64 v[144:145], v[170:171], v[144:145]
	;; [unrolled: 3-line block ×4, first 2 shown]
	v_fma_f64 v[170:171], s[14:15], v[124:125], v[152:153]
	v_mul_f64 v[156:157], v[156:157], s[18:19]
	v_fma_f64 v[138:139], v[138:139], s[22:23], -v[194:195]
	v_fmac_f64_e32 v[172:173], s[42:43], v[140:141]
	v_add_f64 v[142:143], v[170:171], v[142:143]
	v_fma_f64 v[170:171], s[24:25], v[128:129], v[156:157]
	v_mul_f64 v[154:155], v[154:155], s[24:25]
	v_add_f64 v[138:139], v[138:139], v[166:167]
	v_add_f64 v[140:141], v[172:173], v[162:163]
	v_fma_f64 v[134:135], v[146:147], s[28:29], -v[134:135]
	v_fmac_f64_e32 v[148:149], s[26:27], v[132:133]
	v_add_f64 v[144:145], v[170:171], v[144:145]
	v_fma_f64 v[170:171], s[40:41], v[130:131], v[154:155]
	v_mul_f64 v[168:169], v[168:169], s[30:31]
	v_add_f64 v[134:135], v[134:135], v[138:139]
	v_add_f64 v[132:133], v[148:149], v[140:141]
	;; [unrolled: 7-line block ×3, first 2 shown]
	v_fma_f64 v[128:129], v[128:129], s[24:25], -v[156:157]
	v_fmac_f64_e32 v[154:155], s[18:19], v[130:131]
	v_add_f64 v[142:143], v[142:143], v[144:145]
	v_fma_f64 v[144:145], s[2:3], v[158:159], v[164:165]
	v_add_f64 v[126:127], v[128:129], v[126:127]
	v_add_f64 v[124:125], v[154:155], v[124:125]
	v_fma_f64 v[128:129], v[160:161], s[12:13], -v[168:169]
	v_fmac_f64_e32 v[164:165], s[30:31], v[158:159]
	v_add_f64 v[144:145], v[144:145], v[170:171]
	v_add_f64 v[126:127], v[128:129], v[126:127]
	;; [unrolled: 1-line block ×4, first 2 shown]
	s_barrier
	ds_write_b128 v213, v[100:103]
	ds_write_b128 v213, v[108:111] offset:16
	ds_write_b128 v213, v[116:119] offset:32
	;; [unrolled: 1-line block ×12, first 2 shown]
	s_waitcnt lgkmcnt(0)
	s_barrier
	ds_read_b128 v[100:103], v211
	ds_read_b128 v[104:107], v211 offset:208
	ds_read_b128 v[108:111], v211 offset:416
	;; [unrolled: 1-line block ×9, first 2 shown]
	s_waitcnt lgkmcnt(8)
	v_mul_f64 v[134:135], v[66:67], v[106:107]
	v_mul_f64 v[66:67], v[66:67], v[104:105]
	v_fmac_f64_e32 v[134:135], v[64:65], v[104:105]
	v_fma_f64 v[64:65], v[64:65], v[106:107], -v[66:67]
	s_waitcnt lgkmcnt(7)
	v_mul_f64 v[158:159], v[62:63], v[110:111]
	s_waitcnt lgkmcnt(5)
	v_mul_f64 v[106:107], v[54:55], v[118:119]
	v_mul_f64 v[54:55], v[54:55], v[116:117]
	v_fmac_f64_e32 v[158:159], v[60:61], v[108:109]
	v_mul_f64 v[62:63], v[62:63], v[108:109]
	v_fmac_f64_e32 v[106:107], v[52:53], v[116:117]
	v_fma_f64 v[108:109], v[52:53], v[118:119], -v[54:55]
	s_waitcnt lgkmcnt(4)
	v_mul_f64 v[104:105], v[82:83], v[122:123]
	v_mul_f64 v[52:53], v[82:83], v[120:121]
	ds_read_b128 v[146:149], v211 offset:2080
	ds_read_b128 v[150:153], v211 offset:2288
	v_fmac_f64_e32 v[104:105], v[80:81], v[120:121]
	v_fma_f64 v[80:81], v[80:81], v[122:123], -v[52:53]
	s_waitcnt lgkmcnt(5)
	v_mul_f64 v[52:53], v[78:79], v[126:127]
	v_fma_f64 v[110:111], v[60:61], v[110:111], -v[62:63]
	ds_read_b128 v[154:157], v211 offset:2496
	v_fma_f64 v[60:61], v[76:77], v[128:129], -v[52:53]
	s_waitcnt lgkmcnt(5)
	v_mul_f64 v[62:63], v[74:75], v[132:133]
	v_mul_f64 v[52:53], v[74:75], v[130:131]
	v_fmac_f64_e32 v[62:63], v[72:73], v[130:131]
	v_fma_f64 v[66:67], v[72:73], v[132:133], -v[52:53]
	s_waitcnt lgkmcnt(4)
	v_mul_f64 v[72:73], v[70:71], v[140:141]
	v_mul_f64 v[52:53], v[70:71], v[138:139]
	v_fmac_f64_e32 v[72:73], v[68:69], v[138:139]
	v_fma_f64 v[68:69], v[68:69], v[140:141], -v[52:53]
	s_waitcnt lgkmcnt(3)
	v_mul_f64 v[52:53], v[98:99], v[142:143]
	v_mul_f64 v[160:161], v[58:59], v[114:115]
	;; [unrolled: 1-line block ×3, first 2 shown]
	v_fma_f64 v[74:75], v[96:97], v[144:145], -v[52:53]
	s_waitcnt lgkmcnt(2)
	v_mul_f64 v[52:53], v[94:95], v[146:147]
	v_fmac_f64_e32 v[160:161], v[56:57], v[112:113]
	v_fma_f64 v[112:113], v[56:57], v[114:115], -v[58:59]
	v_mul_f64 v[58:59], v[78:79], v[128:129]
	v_fma_f64 v[78:79], v[92:93], v[148:149], -v[52:53]
	s_waitcnt lgkmcnt(1)
	v_mul_f64 v[56:57], v[90:91], v[152:153]
	v_mul_f64 v[52:53], v[90:91], v[150:151]
	v_fmac_f64_e32 v[56:57], v[88:89], v[150:151]
	v_fma_f64 v[82:83], v[88:89], v[152:153], -v[52:53]
	s_waitcnt lgkmcnt(0)
	v_mul_f64 v[88:89], v[86:87], v[156:157]
	v_mul_f64 v[52:53], v[86:87], v[154:155]
	v_fmac_f64_e32 v[88:89], v[84:85], v[154:155]
	v_fma_f64 v[84:85], v[84:85], v[156:157], -v[52:53]
	v_add_f64 v[52:53], v[100:101], v[134:135]
	v_add_f64 v[54:55], v[102:103], v[64:65]
	;; [unrolled: 1-line block ×8, first 2 shown]
	v_fmac_f64_e32 v[58:59], v[76:77], v[126:127]
	v_add_f64 v[52:53], v[52:53], v[104:105]
	v_add_f64 v[54:55], v[54:55], v[80:81]
	;; [unrolled: 1-line block ×4, first 2 shown]
	v_mul_f64 v[70:71], v[98:99], v[144:145]
	v_add_f64 v[52:53], v[52:53], v[62:63]
	v_add_f64 v[54:55], v[54:55], v[66:67]
	v_fmac_f64_e32 v[70:71], v[96:97], v[142:143]
	v_mul_f64 v[76:77], v[94:95], v[148:149]
	v_add_f64 v[52:53], v[52:53], v[72:73]
	v_add_f64 v[54:55], v[54:55], v[68:69]
	v_fmac_f64_e32 v[76:77], v[92:93], v[146:147]
	v_add_f64 v[52:53], v[52:53], v[70:71]
	v_add_f64 v[54:55], v[54:55], v[74:75]
	;; [unrolled: 1-line block ×7, first 2 shown]
	v_add_f64 v[64:65], v[64:65], -v[84:85]
	v_add_f64 v[52:53], v[52:53], v[88:89]
	v_add_f64 v[54:55], v[54:55], v[84:85]
	;; [unrolled: 1-line block ×3, first 2 shown]
	v_add_f64 v[88:89], v[134:135], -v[88:89]
	v_mul_f64 v[84:85], v[64:65], s[20:21]
	v_mul_f64 v[94:95], v[90:91], s[22:23]
	;; [unrolled: 1-line block ×12, first 2 shown]
	v_fma_f64 v[92:93], s[22:23], v[86:87], v[84:85]
	v_fma_f64 v[96:97], s[42:43], v[88:89], v[94:95]
	v_fma_f64 v[84:85], v[86:87], s[22:23], -v[84:85]
	v_fmac_f64_e32 v[94:95], s[20:21], v[88:89]
	v_fma_f64 v[114:115], s[16:17], v[86:87], v[98:99]
	v_fma_f64 v[118:119], s[44:45], v[88:89], v[116:117]
	v_fma_f64 v[98:99], v[86:87], s[16:17], -v[98:99]
	v_fmac_f64_e32 v[116:117], s[14:15], v[88:89]
	;; [unrolled: 4-line block ×5, first 2 shown]
	v_fma_f64 v[148:149], s[36:37], v[86:87], v[64:65]
	v_fma_f64 v[64:65], v[86:87], s[36:37], -v[64:65]
	v_fma_f64 v[86:87], s[46:47], v[88:89], v[90:91]
	v_fmac_f64_e32 v[90:91], s[34:35], v[88:89]
	v_add_f64 v[96:97], v[102:103], v[96:97]
	v_add_f64 v[94:95], v[102:103], v[94:95]
	;; [unrolled: 1-line block ×13, first 2 shown]
	v_add_f64 v[82:83], v[110:111], -v[82:83]
	v_add_f64 v[90:91], v[158:159], v[56:57]
	v_add_f64 v[150:151], v[158:159], -v[56:57]
	v_mul_f64 v[56:57], v[82:83], s[14:15]
	v_add_f64 v[92:93], v[100:101], v[92:93]
	v_add_f64 v[84:85], v[100:101], v[84:85]
	;; [unrolled: 1-line block ×12, first 2 shown]
	v_fma_f64 v[64:65], s[16:17], v[90:91], v[56:57]
	v_add_f64 v[92:93], v[64:65], v[92:93]
	v_mul_f64 v[64:65], v[102:103], s[16:17]
	v_fma_f64 v[56:57], v[90:91], s[16:17], -v[56:57]
	v_fma_f64 v[110:111], s[44:45], v[150:151], v[64:65]
	v_add_f64 v[84:85], v[56:57], v[84:85]
	v_fmac_f64_e32 v[64:65], s[14:15], v[150:151]
	v_mul_f64 v[56:57], v[82:83], s[18:19]
	v_add_f64 v[94:95], v[64:65], v[94:95]
	v_fma_f64 v[64:65], s[24:25], v[90:91], v[56:57]
	v_add_f64 v[96:97], v[110:111], v[96:97]
	v_add_f64 v[110:111], v[64:65], v[114:115]
	v_mul_f64 v[64:65], v[102:103], s[24:25]
	v_fma_f64 v[56:57], v[90:91], s[24:25], -v[56:57]
	v_fma_f64 v[114:115], s[40:41], v[150:151], v[64:65]
	v_add_f64 v[98:99], v[56:57], v[98:99]
	v_fmac_f64_e32 v[64:65], s[18:19], v[150:151]
	v_mul_f64 v[56:57], v[82:83], s[34:35]
	v_add_f64 v[116:117], v[64:65], v[116:117]
	v_fma_f64 v[64:65], s[36:37], v[90:91], v[56:57]
	v_add_f64 v[114:115], v[114:115], v[118:119]
	;; [unrolled: 10-line block ×3, first 2 shown]
	v_add_f64 v[128:129], v[64:65], v[132:133]
	v_mul_f64 v[64:65], v[102:103], s[28:29]
	v_fma_f64 v[132:133], s[26:27], v[150:151], v[64:65]
	v_fmac_f64_e32 v[64:65], s[38:39], v[150:151]
	v_fma_f64 v[56:57], v[90:91], s[28:29], -v[56:57]
	v_add_f64 v[134:135], v[64:65], v[134:135]
	v_mul_f64 v[64:65], v[82:83], s[30:31]
	v_add_f64 v[130:131], v[56:57], v[130:131]
	v_fma_f64 v[56:57], s[12:13], v[90:91], v[64:65]
	v_add_f64 v[132:133], v[132:133], v[138:139]
	v_add_f64 v[138:139], v[56:57], v[142:143]
	v_mul_f64 v[142:143], v[102:103], s[12:13]
	v_fma_f64 v[56:57], s[2:3], v[150:151], v[142:143]
	v_fmac_f64_e32 v[142:143], s[30:31], v[150:151]
	v_mul_f64 v[82:83], v[82:83], s[42:43]
	v_add_f64 v[142:143], v[142:143], v[144:145]
	v_fma_f64 v[144:145], s[22:23], v[90:91], v[82:83]
	v_mul_f64 v[102:103], v[102:103], s[22:23]
	v_fma_f64 v[82:83], v[90:91], s[22:23], -v[82:83]
	v_add_f64 v[144:145], v[144:145], v[148:149]
	v_fma_f64 v[148:149], s[20:21], v[150:151], v[102:103]
	v_add_f64 v[82:83], v[82:83], v[100:101]
	v_fmac_f64_e32 v[102:103], s[42:43], v[150:151]
	v_add_f64 v[100:101], v[112:113], v[78:79]
	v_add_f64 v[78:79], v[112:113], -v[78:79]
	v_fma_f64 v[64:65], v[90:91], s[12:13], -v[64:65]
	v_add_f64 v[88:89], v[102:103], v[88:89]
	v_add_f64 v[90:91], v[160:161], v[76:77]
	v_mul_f64 v[102:103], v[78:79], s[2:3]
	v_fma_f64 v[112:113], s[12:13], v[90:91], v[102:103]
	v_add_f64 v[76:77], v[160:161], -v[76:77]
	v_add_f64 v[92:93], v[112:113], v[92:93]
	v_mul_f64 v[112:113], v[100:101], s[12:13]
	v_fma_f64 v[102:103], v[90:91], s[12:13], -v[102:103]
	v_add_f64 v[86:87], v[148:149], v[86:87]
	v_fma_f64 v[148:149], s[30:31], v[76:77], v[112:113]
	v_add_f64 v[84:85], v[102:103], v[84:85]
	v_fmac_f64_e32 v[112:113], s[2:3], v[76:77]
	v_mul_f64 v[102:103], v[78:79], s[34:35]
	v_add_f64 v[94:95], v[112:113], v[94:95]
	v_fma_f64 v[112:113], s[36:37], v[90:91], v[102:103]
	v_add_f64 v[110:111], v[112:113], v[110:111]
	v_mul_f64 v[112:113], v[100:101], s[36:37]
	v_add_f64 v[96:97], v[148:149], v[96:97]
	v_fma_f64 v[148:149], s[46:47], v[76:77], v[112:113]
	v_fma_f64 v[102:103], v[90:91], s[36:37], -v[102:103]
	v_fmac_f64_e32 v[112:113], s[34:35], v[76:77]
	v_add_f64 v[98:99], v[102:103], v[98:99]
	v_add_f64 v[102:103], v[112:113], v[116:117]
	v_mul_f64 v[112:113], v[78:79], s[40:41]
	v_fma_f64 v[116:117], s[24:25], v[90:91], v[112:113]
	v_add_f64 v[116:117], v[116:117], v[118:119]
	v_mul_f64 v[118:119], v[100:101], s[24:25]
	v_fma_f64 v[112:113], v[90:91], s[24:25], -v[112:113]
	v_add_f64 v[114:115], v[148:149], v[114:115]
	v_fma_f64 v[148:149], s[18:19], v[76:77], v[118:119]
	v_add_f64 v[112:113], v[112:113], v[120:121]
	v_fmac_f64_e32 v[118:119], s[40:41], v[76:77]
	v_mul_f64 v[120:121], v[78:79], s[42:43]
	v_add_f64 v[118:119], v[118:119], v[126:127]
	v_fma_f64 v[126:127], s[22:23], v[90:91], v[120:121]
	v_add_f64 v[126:127], v[126:127], v[128:129]
	v_mul_f64 v[128:129], v[100:101], s[22:23]
	v_fma_f64 v[120:121], v[90:91], s[22:23], -v[120:121]
	v_add_f64 v[122:123], v[148:149], v[122:123]
	v_fma_f64 v[148:149], s[20:21], v[76:77], v[128:129]
	v_add_f64 v[120:121], v[120:121], v[130:131]
	v_fmac_f64_e32 v[128:129], s[42:43], v[76:77]
	v_mul_f64 v[130:131], v[78:79], s[14:15]
	v_add_f64 v[128:129], v[128:129], v[134:135]
	v_fma_f64 v[134:135], s[16:17], v[90:91], v[130:131]
	v_add_f64 v[134:135], v[134:135], v[138:139]
	v_mul_f64 v[138:139], v[100:101], s[16:17]
	v_add_f64 v[132:133], v[148:149], v[132:133]
	v_fma_f64 v[148:149], s[44:45], v[76:77], v[138:139]
	v_fmac_f64_e32 v[138:139], s[14:15], v[76:77]
	v_mul_f64 v[100:101], v[100:101], s[28:29]
	v_add_f64 v[140:141], v[64:65], v[140:141]
	v_fma_f64 v[130:131], v[90:91], s[16:17], -v[130:131]
	v_add_f64 v[138:139], v[138:139], v[142:143]
	v_mul_f64 v[78:79], v[78:79], s[26:27]
	v_fma_f64 v[142:143], s[38:39], v[76:77], v[100:101]
	v_fmac_f64_e32 v[100:101], s[26:27], v[76:77]
	v_add_f64 v[130:131], v[130:131], v[140:141]
	v_fma_f64 v[140:141], s[28:29], v[90:91], v[78:79]
	v_fma_f64 v[78:79], v[90:91], s[28:29], -v[78:79]
	v_add_f64 v[76:77], v[100:101], v[88:89]
	v_add_f64 v[88:89], v[108:109], v[74:75]
	v_add_f64 v[74:75], v[108:109], -v[74:75]
	v_add_f64 v[78:79], v[78:79], v[82:83]
	v_add_f64 v[82:83], v[106:107], v[70:71]
	v_mul_f64 v[90:91], v[74:75], s[18:19]
	v_fma_f64 v[100:101], s[24:25], v[82:83], v[90:91]
	v_add_f64 v[70:71], v[106:107], -v[70:71]
	v_add_f64 v[92:93], v[100:101], v[92:93]
	v_mul_f64 v[100:101], v[88:89], s[24:25]
	v_fma_f64 v[106:107], s[40:41], v[70:71], v[100:101]
	v_fma_f64 v[90:91], v[82:83], s[24:25], -v[90:91]
	v_fmac_f64_e32 v[100:101], s[18:19], v[70:71]
	v_add_f64 v[96:97], v[106:107], v[96:97]
	v_add_f64 v[84:85], v[90:91], v[84:85]
	;; [unrolled: 1-line block ×3, first 2 shown]
	v_mul_f64 v[94:95], v[74:75], s[38:39]
	v_mul_f64 v[106:107], v[88:89], s[28:29]
	v_fma_f64 v[100:101], s[28:29], v[82:83], v[94:95]
	v_fma_f64 v[108:109], s[26:27], v[70:71], v[106:107]
	v_fma_f64 v[94:95], v[82:83], s[28:29], -v[94:95]
	v_fmac_f64_e32 v[106:107], s[38:39], v[70:71]
	v_add_f64 v[94:95], v[94:95], v[98:99]
	v_add_f64 v[98:99], v[106:107], v[102:103]
	v_mul_f64 v[102:103], v[74:75], s[42:43]
	v_fma_f64 v[106:107], s[22:23], v[82:83], v[102:103]
	v_fma_f64 v[102:103], v[82:83], s[22:23], -v[102:103]
	v_add_f64 v[100:101], v[100:101], v[110:111]
	v_mul_f64 v[110:111], v[88:89], s[22:23]
	v_add_f64 v[102:103], v[102:103], v[112:113]
	v_mul_f64 v[112:113], v[74:75], s[2:3]
	v_add_f64 v[108:109], v[108:109], v[114:115]
	v_add_f64 v[106:107], v[106:107], v[116:117]
	v_fma_f64 v[114:115], s[20:21], v[70:71], v[110:111]
	v_fmac_f64_e32 v[110:111], s[42:43], v[70:71]
	v_fma_f64 v[116:117], s[12:13], v[82:83], v[112:113]
	v_fma_f64 v[112:113], v[82:83], s[12:13], -v[112:113]
	v_add_f64 v[110:111], v[110:111], v[118:119]
	v_mul_f64 v[118:119], v[88:89], s[12:13]
	v_add_f64 v[112:113], v[112:113], v[120:121]
	v_mul_f64 v[120:121], v[74:75], s[46:47]
	v_add_f64 v[114:115], v[114:115], v[122:123]
	v_add_f64 v[116:117], v[116:117], v[126:127]
	v_fma_f64 v[122:123], s[30:31], v[70:71], v[118:119]
	v_fmac_f64_e32 v[118:119], s[2:3], v[70:71]
	v_fma_f64 v[126:127], s[36:37], v[82:83], v[120:121]
	v_fma_f64 v[120:121], v[82:83], s[36:37], -v[120:121]
	v_mul_f64 v[74:75], v[74:75], s[44:45]
	v_add_f64 v[118:119], v[118:119], v[128:129]
	v_mul_f64 v[128:129], v[88:89], s[36:37]
	v_add_f64 v[120:121], v[120:121], v[130:131]
	v_fma_f64 v[130:131], s[16:17], v[82:83], v[74:75]
	v_mul_f64 v[88:89], v[88:89], s[16:17]
	v_fma_f64 v[74:75], v[82:83], s[16:17], -v[74:75]
	v_add_f64 v[126:127], v[126:127], v[134:135]
	v_fma_f64 v[134:135], s[14:15], v[70:71], v[88:89]
	v_add_f64 v[74:75], v[74:75], v[78:79]
	v_fmac_f64_e32 v[88:89], s[44:45], v[70:71]
	v_add_f64 v[78:79], v[80:81], v[68:69]
	v_add_f64 v[68:69], v[80:81], -v[68:69]
	v_add_f64 v[122:123], v[122:123], v[132:133]
	v_fma_f64 v[132:133], s[34:35], v[70:71], v[128:129]
	v_fmac_f64_e32 v[128:129], s[46:47], v[70:71]
	v_add_f64 v[70:71], v[88:89], v[76:77]
	v_add_f64 v[76:77], v[104:105], v[72:73]
	v_mul_f64 v[80:81], v[68:69], s[26:27]
	v_add_f64 v[72:73], v[104:105], -v[72:73]
	v_fma_f64 v[82:83], s[28:29], v[76:77], v[80:81]
	v_mul_f64 v[88:89], v[78:79], s[28:29]
	v_add_f64 v[82:83], v[82:83], v[92:93]
	v_fma_f64 v[92:93], s[38:39], v[72:73], v[88:89]
	v_fma_f64 v[80:81], v[76:77], s[28:29], -v[80:81]
	v_fmac_f64_e32 v[88:89], s[26:27], v[72:73]
	v_add_f64 v[80:81], v[80:81], v[84:85]
	v_add_f64 v[84:85], v[88:89], v[90:91]
	v_mul_f64 v[88:89], v[68:69], s[30:31]
	v_add_f64 v[92:93], v[92:93], v[96:97]
	v_fma_f64 v[90:91], s[12:13], v[76:77], v[88:89]
	v_mul_f64 v[96:97], v[78:79], s[12:13]
	v_add_f64 v[90:91], v[90:91], v[100:101]
	v_fma_f64 v[100:101], s[2:3], v[72:73], v[96:97]
	v_fma_f64 v[88:89], v[76:77], s[12:13], -v[88:89]
	v_fmac_f64_e32 v[96:97], s[30:31], v[72:73]
	v_add_f64 v[88:89], v[88:89], v[94:95]
	v_add_f64 v[94:95], v[96:97], v[98:99]
	v_mul_f64 v[96:97], v[68:69], s[14:15]
	v_fma_f64 v[98:99], s[16:17], v[76:77], v[96:97]
	v_mul_f64 v[104:105], v[78:79], s[16:17]
	v_add_f64 v[98:99], v[98:99], v[106:107]
	v_fma_f64 v[106:107], s[44:45], v[72:73], v[104:105]
	v_fma_f64 v[96:97], v[76:77], s[16:17], -v[96:97]
	v_fmac_f64_e32 v[104:105], s[14:15], v[72:73]
	v_add_f64 v[96:97], v[96:97], v[102:103]
	v_add_f64 v[102:103], v[104:105], v[110:111]
	v_mul_f64 v[104:105], v[68:69], s[46:47]
	v_add_f64 v[100:101], v[100:101], v[108:109]
	v_fma_f64 v[108:109], s[36:37], v[76:77], v[104:105]
	v_mul_f64 v[110:111], v[78:79], s[36:37]
	v_fma_f64 v[104:105], v[76:77], s[36:37], -v[104:105]
	v_add_f64 v[146:147], v[56:57], v[146:147]
	v_add_f64 v[106:107], v[106:107], v[114:115]
	v_fma_f64 v[114:115], s[34:35], v[72:73], v[110:111]
	v_add_f64 v[104:105], v[104:105], v[112:113]
	v_fmac_f64_e32 v[110:111], s[46:47], v[72:73]
	v_mul_f64 v[112:113], v[68:69], s[42:43]
	v_add_f64 v[146:147], v[148:149], v[146:147]
	v_add_f64 v[86:87], v[142:143], v[86:87]
	;; [unrolled: 1-line block ×4, first 2 shown]
	v_fma_f64 v[116:117], s[22:23], v[76:77], v[112:113]
	v_mul_f64 v[118:119], v[78:79], s[22:23]
	v_fma_f64 v[112:113], v[76:77], s[22:23], -v[112:113]
	v_mul_f64 v[68:69], v[68:69], s[18:19]
	v_add_f64 v[140:141], v[140:141], v[144:145]
	v_add_f64 v[132:133], v[132:133], v[146:147]
	;; [unrolled: 1-line block ×5, first 2 shown]
	v_fma_f64 v[122:123], s[20:21], v[72:73], v[118:119]
	v_add_f64 v[112:113], v[112:113], v[120:121]
	v_fmac_f64_e32 v[118:119], s[42:43], v[72:73]
	v_fma_f64 v[120:121], s[24:25], v[76:77], v[68:69]
	v_mul_f64 v[78:79], v[78:79], s[24:25]
	v_fma_f64 v[68:69], v[76:77], s[24:25], -v[68:69]
	v_add_f64 v[134:135], v[60:61], v[66:67]
	v_add_f64 v[138:139], v[60:61], -v[66:67]
	v_add_f64 v[130:131], v[130:131], v[140:141]
	v_add_f64 v[116:117], v[116:117], v[126:127]
	;; [unrolled: 1-line block ×4, first 2 shown]
	v_fma_f64 v[126:127], s[40:41], v[72:73], v[78:79]
	v_add_f64 v[128:129], v[68:69], v[74:75]
	v_fmac_f64_e32 v[78:79], s[18:19], v[72:73]
	v_add_f64 v[132:133], v[58:59], v[62:63]
	v_add_f64 v[62:63], v[58:59], -v[62:63]
	v_mul_f64 v[66:67], v[138:139], s[34:35]
	v_mul_f64 v[68:69], v[134:135], s[36:37]
	;; [unrolled: 1-line block ×3, first 2 shown]
	v_add_f64 v[120:121], v[120:121], v[130:131]
	v_add_f64 v[130:131], v[78:79], v[70:71]
	v_fma_f64 v[58:59], s[36:37], v[132:133], v[66:67]
	v_fma_f64 v[60:61], s[46:47], v[62:63], v[68:69]
	v_fmac_f64_e32 v[68:69], s[34:35], v[62:63]
	v_fma_f64 v[70:71], s[22:23], v[132:133], v[74:75]
	v_add_f64 v[58:59], v[58:59], v[82:83]
	v_fma_f64 v[66:67], v[132:133], s[36:37], -v[66:67]
	v_add_f64 v[68:69], v[68:69], v[84:85]
	v_add_f64 v[70:71], v[70:71], v[90:91]
	v_mul_f64 v[76:77], v[134:135], s[22:23]
	v_mul_f64 v[82:83], v[138:139], s[26:27]
	;; [unrolled: 1-line block ×4, first 2 shown]
	v_add_f64 v[126:127], v[126:127], v[86:87]
	v_add_f64 v[66:67], v[66:67], v[80:81]
	v_fma_f64 v[72:73], s[20:21], v[62:63], v[76:77]
	v_fma_f64 v[78:79], s[28:29], v[132:133], v[82:83]
	;; [unrolled: 1-line block ×4, first 2 shown]
	v_add_f64 v[60:61], v[60:61], v[92:93]
	v_add_f64 v[72:73], v[72:73], v[100:101]
	v_fma_f64 v[74:75], v[132:133], s[22:23], -v[74:75]
	v_fmac_f64_e32 v[76:77], s[42:43], v[62:63]
	v_add_f64 v[78:79], v[78:79], v[98:99]
	v_add_f64 v[80:81], v[80:81], v[106:107]
	v_fma_f64 v[82:83], v[132:133], s[28:29], -v[82:83]
	v_fmac_f64_e32 v[84:85], s[26:27], v[62:63]
	v_add_f64 v[86:87], v[86:87], v[108:109]
	v_mul_f64 v[92:93], v[134:135], s[16:17]
	v_fma_f64 v[90:91], v[132:133], s[16:17], -v[90:91]
	v_mul_f64 v[98:99], v[138:139], s[18:19]
	v_mul_f64 v[100:101], v[134:135], s[24:25]
	;; [unrolled: 1-line block ×4, first 2 shown]
	v_add_f64 v[74:75], v[74:75], v[88:89]
	v_add_f64 v[76:77], v[76:77], v[94:95]
	;; [unrolled: 1-line block ×4, first 2 shown]
	v_fma_f64 v[88:89], s[14:15], v[62:63], v[92:93]
	v_add_f64 v[90:91], v[90:91], v[104:105]
	v_fmac_f64_e32 v[92:93], s[44:45], v[62:63]
	v_fma_f64 v[94:95], s[24:25], v[132:133], v[98:99]
	v_fma_f64 v[96:97], s[40:41], v[62:63], v[100:101]
	v_fma_f64 v[98:99], v[132:133], s[24:25], -v[98:99]
	v_fmac_f64_e32 v[100:101], s[18:19], v[62:63]
	v_fma_f64 v[102:103], s[12:13], v[132:133], v[106:107]
	v_fma_f64 v[104:105], s[2:3], v[62:63], v[108:109]
	v_fma_f64 v[106:107], v[132:133], s[12:13], -v[106:107]
	v_fmac_f64_e32 v[108:109], s[30:31], v[62:63]
	v_add_f64 v[88:89], v[88:89], v[114:115]
	v_add_f64 v[92:93], v[92:93], v[110:111]
	;; [unrolled: 1-line block ×10, first 2 shown]
	ds_write_b128 v211, v[52:55]
	ds_write_b128 v211, v[58:61] offset:208
	ds_write_b128 v211, v[70:73] offset:416
	ds_write_b128 v211, v[78:81] offset:624
	ds_write_b128 v211, v[86:89] offset:832
	ds_write_b128 v211, v[94:97] offset:1040
	ds_write_b128 v211, v[102:105] offset:1248
	ds_write_b128 v211, v[106:109] offset:1456
	ds_write_b128 v211, v[98:101] offset:1664
	ds_write_b128 v211, v[90:93] offset:1872
	ds_write_b128 v211, v[82:85] offset:2080
	ds_write_b128 v211, v[74:77] offset:2288
	ds_write_b128 v211, v[66:69] offset:2496
	s_waitcnt lgkmcnt(0)
	s_barrier
	ds_read_b128 v[52:55], v211
	v_mov_b32_e32 v124, s0
	v_mov_b32_e32 v125, s1
	v_mad_u64_u32 v[56:57], s[0:1], s6, v136, 0
	v_mov_b32_e32 v64, v57
	v_mad_u64_u32 v[58:59], s[0:1], s7, v136, v[64:65]
	v_mov_b32_e32 v57, v58
	ds_read_b128 v[58:61], v211 offset:208
	s_waitcnt lgkmcnt(1)
	v_mul_f64 v[62:63], v[10:11], v[54:55]
	s_mov_b32 s0, 0x7ab2bedd
	v_mul_f64 v[10:11], v[10:11], v[52:53]
	v_fmac_f64_e32 v[62:63], v[8:9], v[52:53]
	s_mov_b32 s1, 0x3f783c97
	v_fma_f64 v[8:9], v[8:9], v[54:55], -v[10:11]
	v_mul_f64 v[64:65], v[8:9], s[0:1]
	v_mad_u64_u32 v[8:9], s[2:3], s4, v210, 0
	v_mov_b32_e32 v10, v9
	v_mad_u64_u32 v[10:11], s[2:3], s5, v210, v[10:11]
	v_mov_b32_e32 v9, v10
	v_lshl_add_u64 v[10:11], v[56:57], 4, v[124:125]
	v_lshl_add_u64 v[52:53], v[8:9], 4, v[10:11]
	s_waitcnt lgkmcnt(0)
	v_mul_f64 v[8:9], v[46:47], v[60:61]
	v_mul_f64 v[10:11], v[46:47], v[58:59]
	v_mad_u64_u32 v[56:57], s[2:3], s4, v137, v[52:53]
	v_fmac_f64_e32 v[8:9], v[44:45], v[58:59]
	v_fma_f64 v[10:11], v[44:45], v[60:61], -v[10:11]
	ds_read_b128 v[44:47], v211 offset:416
	s_mul_i32 s2, s5, 0xd0
	v_mul_f64 v[62:63], v[62:63], s[0:1]
	v_mul_f64 v[8:9], v[8:9], s[0:1]
	;; [unrolled: 1-line block ×3, first 2 shown]
	v_add_u32_e32 v57, s2, v57
	global_store_dwordx4 v[52:53], v[62:65], off
	global_store_dwordx4 v[56:57], v[8:11], off
	ds_read_b128 v[8:11], v211 offset:624
	s_waitcnt lgkmcnt(1)
	v_mul_f64 v[52:53], v[18:19], v[46:47]
	v_mul_f64 v[18:19], v[18:19], v[44:45]
	v_fmac_f64_e32 v[52:53], v[16:17], v[44:45]
	v_fma_f64 v[16:17], v[16:17], v[46:47], -v[18:19]
	v_mul_f64 v[54:55], v[16:17], s[0:1]
	s_waitcnt lgkmcnt(0)
	v_mul_f64 v[16:17], v[50:51], v[10:11]
	v_fmac_f64_e32 v[16:17], v[48:49], v[8:9]
	v_mul_f64 v[8:9], v[50:51], v[8:9]
	v_mad_u64_u32 v[44:45], s[6:7], s4, v137, v[56:57]
	v_fma_f64 v[8:9], v[48:49], v[10:11], -v[8:9]
	v_add_u32_e32 v45, s2, v45
	v_mul_f64 v[18:19], v[8:9], s[0:1]
	ds_read_b128 v[8:11], v211 offset:832
	v_mad_u64_u32 v[48:49], s[6:7], s4, v137, v[44:45]
	v_mul_f64 v[52:53], v[52:53], s[0:1]
	v_mul_f64 v[16:17], v[16:17], s[0:1]
	v_add_u32_e32 v49, s2, v49
	global_store_dwordx4 v[44:45], v[52:55], off
	global_store_dwordx4 v[48:49], v[16:19], off
	ds_read_b128 v[16:19], v211 offset:1040
	s_waitcnt lgkmcnt(1)
	v_mul_f64 v[44:45], v[22:23], v[10:11]
	v_fmac_f64_e32 v[44:45], v[20:21], v[8:9]
	v_mul_f64 v[8:9], v[22:23], v[8:9]
	v_fma_f64 v[8:9], v[20:21], v[10:11], -v[8:9]
	v_mad_u64_u32 v[20:21], s[6:7], s4, v137, v[48:49]
	v_mul_f64 v[46:47], v[8:9], s[0:1]
	v_add_u32_e32 v21, s2, v21
	s_waitcnt lgkmcnt(0)
	v_mul_f64 v[8:9], v[42:43], v[18:19]
	v_mul_f64 v[10:11], v[42:43], v[16:17]
	v_fmac_f64_e32 v[8:9], v[40:41], v[16:17]
	v_fma_f64 v[10:11], v[40:41], v[18:19], -v[10:11]
	ds_read_b128 v[16:19], v211 offset:1248
	v_mad_u64_u32 v[40:41], s[6:7], s4, v137, v[20:21]
	v_mul_f64 v[44:45], v[44:45], s[0:1]
	v_mul_f64 v[8:9], v[8:9], s[0:1]
	;; [unrolled: 1-line block ×3, first 2 shown]
	v_add_u32_e32 v41, s2, v41
	global_store_dwordx4 v[20:21], v[44:47], off
	global_store_dwordx4 v[40:41], v[8:11], off
	ds_read_b128 v[8:11], v211 offset:1456
	s_waitcnt lgkmcnt(1)
	v_mul_f64 v[20:21], v[14:15], v[18:19]
	v_mul_f64 v[14:15], v[14:15], v[16:17]
	v_fmac_f64_e32 v[20:21], v[12:13], v[16:17]
	v_fma_f64 v[12:13], v[12:13], v[18:19], -v[14:15]
	v_mul_f64 v[22:23], v[12:13], s[0:1]
	s_waitcnt lgkmcnt(0)
	v_mul_f64 v[12:13], v[38:39], v[10:11]
	v_mad_u64_u32 v[16:17], s[6:7], s4, v137, v[40:41]
	v_fmac_f64_e32 v[12:13], v[36:37], v[8:9]
	v_mul_f64 v[8:9], v[38:39], v[8:9]
	v_mul_f64 v[20:21], v[20:21], s[0:1]
	v_add_u32_e32 v17, s2, v17
	v_fma_f64 v[8:9], v[36:37], v[10:11], -v[8:9]
	global_store_dwordx4 v[16:17], v[20:23], off
	v_mul_f64 v[14:15], v[8:9], s[0:1]
	ds_read_b128 v[8:11], v211 offset:1664
	v_mad_u64_u32 v[20:21], s[6:7], s4, v137, v[16:17]
	v_mul_f64 v[12:13], v[12:13], s[0:1]
	v_add_u32_e32 v21, s2, v21
	global_store_dwordx4 v[20:21], v[12:15], off
	ds_read_b128 v[12:15], v211 offset:1872
	s_waitcnt lgkmcnt(1)
	v_mul_f64 v[16:17], v[6:7], v[10:11]
	v_mul_f64 v[6:7], v[6:7], v[8:9]
	v_fmac_f64_e32 v[16:17], v[4:5], v[8:9]
	v_fma_f64 v[4:5], v[4:5], v[10:11], -v[6:7]
	v_mad_u64_u32 v[20:21], s[6:7], s4, v137, v[20:21]
	v_mul_f64 v[16:17], v[16:17], s[0:1]
	v_mul_f64 v[18:19], v[4:5], s[0:1]
	v_add_u32_e32 v21, s2, v21
	s_waitcnt lgkmcnt(0)
	v_mul_f64 v[4:5], v[30:31], v[14:15]
	v_mul_f64 v[6:7], v[30:31], v[12:13]
	global_store_dwordx4 v[20:21], v[16:19], off
	v_fmac_f64_e32 v[4:5], v[28:29], v[12:13]
	v_fma_f64 v[6:7], v[28:29], v[14:15], -v[6:7]
	ds_read_b128 v[8:11], v211 offset:2080
	v_mad_u64_u32 v[16:17], s[6:7], s4, v137, v[20:21]
	v_mul_f64 v[4:5], v[4:5], s[0:1]
	v_mul_f64 v[6:7], v[6:7], s[0:1]
	v_add_u32_e32 v17, s2, v17
	global_store_dwordx4 v[16:17], v[4:7], off
	ds_read_b128 v[4:7], v211 offset:2288
	s_waitcnt lgkmcnt(1)
	v_mul_f64 v[12:13], v[2:3], v[10:11]
	v_mul_f64 v[2:3], v[2:3], v[8:9]
	v_fmac_f64_e32 v[12:13], v[0:1], v[8:9]
	v_fma_f64 v[0:1], v[0:1], v[10:11], -v[2:3]
	v_mul_f64 v[14:15], v[0:1], s[0:1]
	s_waitcnt lgkmcnt(0)
	v_mul_f64 v[0:1], v[26:27], v[6:7]
	v_mul_f64 v[2:3], v[26:27], v[4:5]
	v_fmac_f64_e32 v[0:1], v[24:25], v[4:5]
	v_fma_f64 v[2:3], v[24:25], v[6:7], -v[2:3]
	ds_read_b128 v[4:7], v211 offset:2496
	v_mad_u64_u32 v[8:9], s[6:7], s4, v137, v[16:17]
	v_mul_f64 v[12:13], v[12:13], s[0:1]
	v_add_u32_e32 v9, s2, v9
	global_store_dwordx4 v[8:9], v[12:15], off
	v_mad_u64_u32 v[8:9], s[6:7], s4, v137, v[8:9]
	v_mul_f64 v[0:1], v[0:1], s[0:1]
	v_mul_f64 v[2:3], v[2:3], s[0:1]
	v_add_u32_e32 v9, s2, v9
	global_store_dwordx4 v[8:9], v[0:3], off
	s_waitcnt lgkmcnt(0)
	s_nop 0
	v_mul_f64 v[0:1], v[34:35], v[6:7]
	v_mul_f64 v[2:3], v[34:35], v[4:5]
	v_fmac_f64_e32 v[0:1], v[32:33], v[4:5]
	v_fma_f64 v[2:3], v[32:33], v[6:7], -v[2:3]
	v_mul_f64 v[0:1], v[0:1], s[0:1]
	v_mul_f64 v[2:3], v[2:3], s[0:1]
	v_mad_u64_u32 v[4:5], s[0:1], s4, v137, v[8:9]
	v_add_u32_e32 v5, s2, v5
	global_store_dwordx4 v[4:5], v[0:3], off
.LBB0_2:
	s_endpgm
	.section	.rodata,"a",@progbits
	.p2align	6, 0x0
	.amdhsa_kernel bluestein_single_back_len169_dim1_dp_op_CI_CI
		.amdhsa_group_segment_fixed_size 51376
		.amdhsa_private_segment_fixed_size 0
		.amdhsa_kernarg_size 104
		.amdhsa_user_sgpr_count 2
		.amdhsa_user_sgpr_dispatch_ptr 0
		.amdhsa_user_sgpr_queue_ptr 0
		.amdhsa_user_sgpr_kernarg_segment_ptr 1
		.amdhsa_user_sgpr_dispatch_id 0
		.amdhsa_user_sgpr_kernarg_preload_length 0
		.amdhsa_user_sgpr_kernarg_preload_offset 0
		.amdhsa_user_sgpr_private_segment_size 0
		.amdhsa_uses_dynamic_stack 0
		.amdhsa_enable_private_segment 0
		.amdhsa_system_sgpr_workgroup_id_x 1
		.amdhsa_system_sgpr_workgroup_id_y 0
		.amdhsa_system_sgpr_workgroup_id_z 0
		.amdhsa_system_sgpr_workgroup_info 0
		.amdhsa_system_vgpr_workitem_id 0
		.amdhsa_next_free_vgpr 226
		.amdhsa_next_free_sgpr 48
		.amdhsa_accum_offset 228
		.amdhsa_reserve_vcc 1
		.amdhsa_float_round_mode_32 0
		.amdhsa_float_round_mode_16_64 0
		.amdhsa_float_denorm_mode_32 3
		.amdhsa_float_denorm_mode_16_64 3
		.amdhsa_dx10_clamp 1
		.amdhsa_ieee_mode 1
		.amdhsa_fp16_overflow 0
		.amdhsa_tg_split 0
		.amdhsa_exception_fp_ieee_invalid_op 0
		.amdhsa_exception_fp_denorm_src 0
		.amdhsa_exception_fp_ieee_div_zero 0
		.amdhsa_exception_fp_ieee_overflow 0
		.amdhsa_exception_fp_ieee_underflow 0
		.amdhsa_exception_fp_ieee_inexact 0
		.amdhsa_exception_int_div_zero 0
	.end_amdhsa_kernel
	.text
.Lfunc_end0:
	.size	bluestein_single_back_len169_dim1_dp_op_CI_CI, .Lfunc_end0-bluestein_single_back_len169_dim1_dp_op_CI_CI
                                        ; -- End function
	.section	.AMDGPU.csdata,"",@progbits
; Kernel info:
; codeLenInByte = 17560
; NumSgprs: 54
; NumVgprs: 226
; NumAgprs: 0
; TotalNumVgprs: 226
; ScratchSize: 0
; MemoryBound: 0
; FloatMode: 240
; IeeeMode: 1
; LDSByteSize: 51376 bytes/workgroup (compile time only)
; SGPRBlocks: 6
; VGPRBlocks: 28
; NumSGPRsForWavesPerEU: 54
; NumVGPRsForWavesPerEU: 226
; AccumOffset: 228
; Occupancy: 2
; WaveLimiterHint : 1
; COMPUTE_PGM_RSRC2:SCRATCH_EN: 0
; COMPUTE_PGM_RSRC2:USER_SGPR: 2
; COMPUTE_PGM_RSRC2:TRAP_HANDLER: 0
; COMPUTE_PGM_RSRC2:TGID_X_EN: 1
; COMPUTE_PGM_RSRC2:TGID_Y_EN: 0
; COMPUTE_PGM_RSRC2:TGID_Z_EN: 0
; COMPUTE_PGM_RSRC2:TIDIG_COMP_CNT: 0
; COMPUTE_PGM_RSRC3_GFX90A:ACCUM_OFFSET: 56
; COMPUTE_PGM_RSRC3_GFX90A:TG_SPLIT: 0
	.text
	.p2alignl 6, 3212836864
	.fill 256, 4, 3212836864
	.type	__hip_cuid_68079cf06404768f,@object ; @__hip_cuid_68079cf06404768f
	.section	.bss,"aw",@nobits
	.globl	__hip_cuid_68079cf06404768f
__hip_cuid_68079cf06404768f:
	.byte	0                               ; 0x0
	.size	__hip_cuid_68079cf06404768f, 1

	.ident	"AMD clang version 19.0.0git (https://github.com/RadeonOpenCompute/llvm-project roc-6.4.0 25133 c7fe45cf4b819c5991fe208aaa96edf142730f1d)"
	.section	".note.GNU-stack","",@progbits
	.addrsig
	.addrsig_sym __hip_cuid_68079cf06404768f
	.amdgpu_metadata
---
amdhsa.kernels:
  - .agpr_count:     0
    .args:
      - .actual_access:  read_only
        .address_space:  global
        .offset:         0
        .size:           8
        .value_kind:     global_buffer
      - .actual_access:  read_only
        .address_space:  global
        .offset:         8
        .size:           8
        .value_kind:     global_buffer
      - .actual_access:  read_only
        .address_space:  global
        .offset:         16
        .size:           8
        .value_kind:     global_buffer
      - .actual_access:  read_only
        .address_space:  global
        .offset:         24
        .size:           8
        .value_kind:     global_buffer
      - .actual_access:  read_only
        .address_space:  global
        .offset:         32
        .size:           8
        .value_kind:     global_buffer
      - .offset:         40
        .size:           8
        .value_kind:     by_value
      - .address_space:  global
        .offset:         48
        .size:           8
        .value_kind:     global_buffer
      - .address_space:  global
        .offset:         56
        .size:           8
        .value_kind:     global_buffer
      - .address_space:  global
        .offset:         64
        .size:           8
        .value_kind:     global_buffer
      - .address_space:  global
        .offset:         72
        .size:           8
        .value_kind:     global_buffer
      - .offset:         80
        .size:           4
        .value_kind:     by_value
      - .address_space:  global
        .offset:         88
        .size:           8
        .value_kind:     global_buffer
      - .address_space:  global
        .offset:         96
        .size:           8
        .value_kind:     global_buffer
    .group_segment_fixed_size: 51376
    .kernarg_segment_align: 8
    .kernarg_segment_size: 104
    .language:       OpenCL C
    .language_version:
      - 2
      - 0
    .max_flat_workgroup_size: 247
    .name:           bluestein_single_back_len169_dim1_dp_op_CI_CI
    .private_segment_fixed_size: 0
    .sgpr_count:     54
    .sgpr_spill_count: 0
    .symbol:         bluestein_single_back_len169_dim1_dp_op_CI_CI.kd
    .uniform_work_group_size: 1
    .uses_dynamic_stack: false
    .vgpr_count:     226
    .vgpr_spill_count: 0
    .wavefront_size: 64
amdhsa.target:   amdgcn-amd-amdhsa--gfx950
amdhsa.version:
  - 1
  - 2
...

	.end_amdgpu_metadata
